;; amdgpu-corpus repo=ROCm/rocFFT kind=compiled arch=gfx906 opt=O3
	.text
	.amdgcn_target "amdgcn-amd-amdhsa--gfx906"
	.amdhsa_code_object_version 6
	.protected	bluestein_single_back_len1872_dim1_half_op_CI_CI ; -- Begin function bluestein_single_back_len1872_dim1_half_op_CI_CI
	.globl	bluestein_single_back_len1872_dim1_half_op_CI_CI
	.p2align	8
	.type	bluestein_single_back_len1872_dim1_half_op_CI_CI,@function
bluestein_single_back_len1872_dim1_half_op_CI_CI: ; @bluestein_single_back_len1872_dim1_half_op_CI_CI
; %bb.0:
	s_load_dwordx4 s[0:3], s[4:5], 0x28
	v_mul_u32_u24_e32 v1, 0x1a5, v0
	v_add_u32_sdwa v13, s6, v1 dst_sel:DWORD dst_unused:UNUSED_PAD src0_sel:DWORD src1_sel:WORD_1
	v_mov_b32_e32 v14, 0
	s_waitcnt lgkmcnt(0)
	v_cmp_gt_u64_e32 vcc, s[0:1], v[13:14]
	s_and_saveexec_b64 s[0:1], vcc
	s_cbranch_execz .LBB0_15
; %bb.1:
	s_load_dwordx2 s[6:7], s[4:5], 0x0
	s_load_dwordx2 s[12:13], s[4:5], 0x38
	s_movk_i32 s0, 0x9c
	v_mul_lo_u16_sdwa v1, v1, s0 dst_sel:DWORD dst_unused:UNUSED_PAD src0_sel:WORD_1 src1_sel:DWORD
	v_sub_u16_e32 v35, v0, v1
	s_movk_i32 s0, 0x90
	v_cmp_gt_u16_e64 s[0:1], s0, v35
	v_lshlrev_b32_e32 v34, 2, v35
	s_and_saveexec_b64 s[14:15], s[0:1]
	s_cbranch_execz .LBB0_3
; %bb.2:
	s_load_dwordx2 s[8:9], s[4:5], 0x18
	s_waitcnt lgkmcnt(0)
	s_load_dwordx4 s[8:11], s[8:9], 0x0
	s_waitcnt lgkmcnt(0)
	v_mad_u64_u32 v[0:1], s[16:17], s10, v13, 0
	v_mad_u64_u32 v[2:3], s[16:17], s8, v35, 0
	;; [unrolled: 1-line block ×4, first 2 shown]
	v_mov_b32_e32 v1, v4
	v_lshlrev_b64 v[0:1], 2, v[0:1]
	v_mov_b32_e32 v3, v5
	v_mov_b32_e32 v6, s3
	v_lshlrev_b64 v[2:3], 2, v[2:3]
	v_add_co_u32_e32 v0, vcc, s2, v0
	v_addc_co_u32_e32 v1, vcc, v6, v1, vcc
	v_add_co_u32_e32 v0, vcc, v0, v2
	v_addc_co_u32_e32 v1, vcc, v1, v3, vcc
	global_load_dword v4, v[0:1], off
	global_load_dword v5, v34, s[6:7]
	v_mov_b32_e32 v2, s7
	v_add_co_u32_e32 v3, vcc, s6, v34
	s_mul_i32 s3, s9, 0x240
	s_mul_hi_u32 s9, s8, 0x240
	v_addc_co_u32_e32 v14, vcc, 0, v2, vcc
	s_mulk_i32 s8, 0x240
	s_add_i32 s3, s9, s3
	v_mov_b32_e32 v2, s3
	v_add_co_u32_e32 v0, vcc, s8, v0
	v_addc_co_u32_e32 v1, vcc, v1, v2, vcc
	global_load_dword v6, v34, s[6:7] offset:576
	global_load_dword v7, v34, s[6:7] offset:1152
	;; [unrolled: 1-line block ×7, first 2 shown]
	global_load_dword v17, v[0:1], off
	v_mov_b32_e32 v15, s3
	v_add_co_u32_e32 v0, vcc, s8, v0
	v_addc_co_u32_e32 v1, vcc, v1, v15, vcc
	global_load_dword v15, v[0:1], off
	v_mov_b32_e32 v16, s3
	v_add_co_u32_e32 v0, vcc, s8, v0
	s_movk_i32 s2, 0x1000
	v_addc_co_u32_e32 v1, vcc, v1, v16, vcc
	global_load_dword v16, v[0:1], off
	v_add_co_u32_e32 v2, vcc, s2, v3
	v_addc_co_u32_e32 v3, vcc, 0, v14, vcc
	v_mov_b32_e32 v14, s3
	v_add_co_u32_e32 v0, vcc, s8, v0
	v_addc_co_u32_e32 v1, vcc, v1, v14, vcc
	global_load_dword v14, v[0:1], off
	v_mov_b32_e32 v18, s3
	v_add_co_u32_e32 v0, vcc, s8, v0
	v_addc_co_u32_e32 v1, vcc, v1, v18, vcc
	global_load_dword v18, v[0:1], off
	;; [unrolled: 4-line block ×5, first 2 shown]
	v_mov_b32_e32 v22, s3
	v_add_co_u32_e32 v0, vcc, s8, v0
	v_addc_co_u32_e32 v1, vcc, v1, v22, vcc
	global_load_dword v22, v[2:3], off offset:512
	global_load_dword v23, v[0:1], off
	v_mov_b32_e32 v27, s3
	v_add_co_u32_e32 v0, vcc, s8, v0
	v_addc_co_u32_e32 v1, vcc, v1, v27, vcc
	v_mov_b32_e32 v29, s3
	s_waitcnt vmcnt(18)
	v_lshrrev_b32_e32 v24, 16, v4
	s_waitcnt vmcnt(17)
	v_mul_f16_sdwa v26, v5, v24 dst_sel:DWORD dst_unused:UNUSED_PAD src0_sel:WORD_1 src1_sel:DWORD
	v_mul_f16_sdwa v25, v5, v4 dst_sel:DWORD dst_unused:UNUSED_PAD src0_sel:WORD_1 src1_sel:DWORD
	v_fma_f16 v4, v5, v4, v26
	global_load_dword v26, v[2:3], off offset:1088
	global_load_dword v27, v[0:1], off
	global_load_dword v28, v[2:3], off offset:1664
	v_add_co_u32_e32 v0, vcc, s8, v0
	v_addc_co_u32_e32 v1, vcc, v1, v29, vcc
	global_load_dword v29, v[0:1], off
	global_load_dword v30, v[2:3], off offset:2240
	v_fma_f16 v5, v5, v24, -v25
	v_mov_b32_e32 v24, s3
	v_add_co_u32_e32 v0, vcc, s8, v0
	v_addc_co_u32_e32 v1, vcc, v1, v24, vcc
	global_load_dword v24, v[0:1], off
	global_load_dword v25, v[2:3], off offset:2816
	s_waitcnt vmcnt(16)
	v_lshrrev_b32_e32 v1, 16, v17
	v_mul_f16_sdwa v2, v6, v1 dst_sel:DWORD dst_unused:UNUSED_PAD src0_sel:WORD_1 src1_sel:DWORD
	v_mul_f16_sdwa v3, v6, v17 dst_sel:DWORD dst_unused:UNUSED_PAD src0_sel:WORD_1 src1_sel:DWORD
	v_fma_f16 v2, v6, v17, v2
	v_fma_f16 v1, v6, v1, -v3
	v_pack_b32_f16 v0, v4, v5
	v_pack_b32_f16 v1, v2, v1
	ds_write2_b32 v34, v0, v1 offset1:144
	s_waitcnt vmcnt(15)
	v_lshrrev_b32_e32 v0, 16, v15
	v_mul_f16_sdwa v1, v7, v0 dst_sel:DWORD dst_unused:UNUSED_PAD src0_sel:WORD_1 src1_sel:DWORD
	v_mul_f16_sdwa v2, v7, v15 dst_sel:DWORD dst_unused:UNUSED_PAD src0_sel:WORD_1 src1_sel:DWORD
	v_fma_f16 v1, v7, v15, v1
	v_fma_f16 v0, v7, v0, -v2
	v_pack_b32_f16 v0, v1, v0
	s_waitcnt vmcnt(14)
	v_lshrrev_b32_e32 v1, 16, v16
	v_mul_f16_sdwa v2, v8, v1 dst_sel:DWORD dst_unused:UNUSED_PAD src0_sel:WORD_1 src1_sel:DWORD
	v_mul_f16_sdwa v3, v8, v16 dst_sel:DWORD dst_unused:UNUSED_PAD src0_sel:WORD_1 src1_sel:DWORD
	v_fma_f16 v2, v8, v16, v2
	v_fma_f16 v1, v8, v1, -v3
	v_pack_b32_f16 v1, v2, v1
	v_add_u32_e32 v2, 0x400, v34
	ds_write2_b32 v2, v0, v1 offset0:32 offset1:176
	s_waitcnt vmcnt(13)
	v_lshrrev_b32_e32 v0, 16, v14
	v_mul_f16_sdwa v1, v9, v0 dst_sel:DWORD dst_unused:UNUSED_PAD src0_sel:WORD_1 src1_sel:DWORD
	v_mul_f16_sdwa v2, v9, v14 dst_sel:DWORD dst_unused:UNUSED_PAD src0_sel:WORD_1 src1_sel:DWORD
	v_fma_f16 v1, v9, v14, v1
	v_fma_f16 v0, v9, v0, -v2
	v_pack_b32_f16 v0, v1, v0
	s_waitcnt vmcnt(12)
	v_lshrrev_b32_e32 v1, 16, v18
	v_mul_f16_sdwa v2, v10, v1 dst_sel:DWORD dst_unused:UNUSED_PAD src0_sel:WORD_1 src1_sel:DWORD
	v_mul_f16_sdwa v3, v10, v18 dst_sel:DWORD dst_unused:UNUSED_PAD src0_sel:WORD_1 src1_sel:DWORD
	v_fma_f16 v2, v10, v18, v2
	v_fma_f16 v1, v10, v1, -v3
	v_pack_b32_f16 v1, v2, v1
	v_add_u32_e32 v2, 0x800, v34
	ds_write2_b32 v2, v0, v1 offset0:64 offset1:208
	s_waitcnt vmcnt(11)
	v_lshrrev_b32_e32 v0, 16, v19
	v_mul_f16_sdwa v1, v11, v0 dst_sel:DWORD dst_unused:UNUSED_PAD src0_sel:WORD_1 src1_sel:DWORD
	v_mul_f16_sdwa v2, v11, v19 dst_sel:DWORD dst_unused:UNUSED_PAD src0_sel:WORD_1 src1_sel:DWORD
	v_fma_f16 v1, v11, v19, v1
	v_fma_f16 v0, v11, v0, -v2
	v_pack_b32_f16 v0, v1, v0
	s_waitcnt vmcnt(10)
	v_lshrrev_b32_e32 v1, 16, v20
	v_mul_f16_sdwa v2, v12, v1 dst_sel:DWORD dst_unused:UNUSED_PAD src0_sel:WORD_1 src1_sel:DWORD
	v_mul_f16_sdwa v3, v12, v20 dst_sel:DWORD dst_unused:UNUSED_PAD src0_sel:WORD_1 src1_sel:DWORD
	v_fma_f16 v2, v12, v20, v2
	v_fma_f16 v1, v12, v1, -v3
	v_pack_b32_f16 v1, v2, v1
	v_add_u32_e32 v2, 0xc00, v34
	ds_write2_b32 v2, v0, v1 offset0:96 offset1:240
	s_waitcnt vmcnt(9)
	v_lshrrev_b32_e32 v0, 16, v21
	s_waitcnt vmcnt(8)
	v_mul_f16_sdwa v1, v22, v0 dst_sel:DWORD dst_unused:UNUSED_PAD src0_sel:WORD_1 src1_sel:DWORD
	v_mul_f16_sdwa v2, v22, v21 dst_sel:DWORD dst_unused:UNUSED_PAD src0_sel:WORD_1 src1_sel:DWORD
	v_fma_f16 v1, v22, v21, v1
	v_fma_f16 v0, v22, v0, -v2
	v_pack_b32_f16 v0, v1, v0
	s_waitcnt vmcnt(7)
	v_lshrrev_b32_e32 v1, 16, v23
	s_waitcnt vmcnt(6)
	v_mul_f16_sdwa v2, v26, v1 dst_sel:DWORD dst_unused:UNUSED_PAD src0_sel:WORD_1 src1_sel:DWORD
	v_mul_f16_sdwa v3, v26, v23 dst_sel:DWORD dst_unused:UNUSED_PAD src0_sel:WORD_1 src1_sel:DWORD
	v_fma_f16 v2, v26, v23, v2
	v_fma_f16 v1, v26, v1, -v3
	v_pack_b32_f16 v1, v2, v1
	v_add_u32_e32 v2, 0x1200, v34
	ds_write2_b32 v2, v0, v1 offset1:144
	s_waitcnt vmcnt(5)
	v_lshrrev_b32_e32 v0, 16, v27
	s_waitcnt vmcnt(4)
	v_mul_f16_sdwa v1, v28, v0 dst_sel:DWORD dst_unused:UNUSED_PAD src0_sel:WORD_1 src1_sel:DWORD
	v_mul_f16_sdwa v2, v28, v27 dst_sel:DWORD dst_unused:UNUSED_PAD src0_sel:WORD_1 src1_sel:DWORD
	v_fma_f16 v1, v28, v27, v1
	v_fma_f16 v0, v28, v0, -v2
	v_pack_b32_f16 v0, v1, v0
	s_waitcnt vmcnt(3)
	v_lshrrev_b32_e32 v1, 16, v29
	s_waitcnt vmcnt(2)
	v_mul_f16_sdwa v2, v30, v1 dst_sel:DWORD dst_unused:UNUSED_PAD src0_sel:WORD_1 src1_sel:DWORD
	v_mul_f16_sdwa v3, v30, v29 dst_sel:DWORD dst_unused:UNUSED_PAD src0_sel:WORD_1 src1_sel:DWORD
	v_fma_f16 v2, v30, v29, v2
	v_fma_f16 v1, v30, v1, -v3
	v_pack_b32_f16 v1, v2, v1
	v_add_u32_e32 v2, 0x1600, v34
	ds_write2_b32 v2, v0, v1 offset0:32 offset1:176
	s_waitcnt vmcnt(1)
	v_lshrrev_b32_e32 v0, 16, v24
	s_waitcnt vmcnt(0)
	v_mul_f16_sdwa v1, v25, v0 dst_sel:DWORD dst_unused:UNUSED_PAD src0_sel:WORD_1 src1_sel:DWORD
	v_mul_f16_sdwa v2, v25, v24 dst_sel:DWORD dst_unused:UNUSED_PAD src0_sel:WORD_1 src1_sel:DWORD
	v_fma_f16 v1, v25, v24, v1
	v_fma_f16 v0, v25, v0, -v2
	v_pack_b32_f16 v0, v1, v0
	ds_write_b32 v34, v0 offset:6912
.LBB0_3:
	s_or_b64 exec, exec, s[14:15]
	s_load_dwordx2 s[8:9], s[4:5], 0x20
	s_load_dwordx2 s[2:3], s[4:5], 0x8
	v_mov_b32_e32 v0, 0
	s_waitcnt lgkmcnt(0)
	s_barrier
	s_waitcnt lgkmcnt(0)
                                        ; implicit-def: $vgpr12
                                        ; implicit-def: $vgpr9
                                        ; implicit-def: $vgpr7
                                        ; implicit-def: $vgpr5
                                        ; implicit-def: $vgpr3
                                        ; implicit-def: $vgpr11
	s_and_saveexec_b64 s[4:5], s[0:1]
	s_cbranch_execz .LBB0_5
; %bb.4:
	v_add_u32_e32 v2, 0x400, v34
	ds_read2_b32 v[10:11], v2 offset0:32 offset1:176
	v_add_u32_e32 v2, 0x800, v34
	v_add_u32_e32 v4, 0xc00, v34
	;; [unrolled: 1-line block ×4, first 2 shown]
	ds_read2_b32 v[0:1], v34 offset1:144
	ds_read2_b32 v[2:3], v2 offset0:64 offset1:208
	ds_read2_b32 v[4:5], v4 offset0:96 offset1:240
	ds_read2_b32 v[6:7], v6 offset1:144
	ds_read2_b32 v[8:9], v8 offset0:32 offset1:176
	ds_read_b32 v12, v34 offset:6912
.LBB0_5:
	s_or_b64 exec, exec, s[4:5]
	s_waitcnt lgkmcnt(0)
	v_pk_add_f16 v14, v1, v12 neg_lo:[0,1] neg_hi:[0,1]
	s_mov_b32 s26, 0xb770
	v_pk_add_f16 v16, v12, v1
	s_movk_i32 s10, 0x3b15
	v_mul_f16_sdwa v26, v14, s26 dst_sel:DWORD dst_unused:UNUSED_PAD src0_sel:WORD_1 src1_sel:DWORD
	v_lshrrev_b32_e32 v33, 16, v16
	v_mul_f16_e32 v32, 0xb770, v14
	v_fma_f16 v15, v16, s10, v26
	v_add_f16_e32 v17, v15, v0
	v_fma_f16 v15, v33, s10, -v32
	v_add_f16_sdwa v19, v15, v0 dst_sel:DWORD dst_unused:UNUSED_PAD src0_sel:DWORD src1_sel:WORD_1
	v_pk_add_f16 v15, v10, v9 neg_lo:[0,1] neg_hi:[0,1]
	s_mov_b32 s24, 0xba95
	v_pk_add_f16 v18, v9, v10
	s_movk_i32 s11, 0x388b
	v_mul_f16_sdwa v27, v15, s24 dst_sel:DWORD dst_unused:UNUSED_PAD src0_sel:WORD_1 src1_sel:DWORD
	v_lshrrev_b32_e32 v37, 16, v18
	v_mul_f16_e32 v36, 0xba95, v15
	v_fma_f16 v20, v18, s11, v27
	v_add_f16_e32 v21, v20, v17
	v_fma_f16 v17, v37, s11, -v36
	v_add_f16_e32 v19, v17, v19
	v_pk_add_f16 v17, v11, v8 neg_lo:[0,1] neg_hi:[0,1]
	s_mov_b32 s25, 0xbbf1
	v_pk_add_f16 v20, v8, v11
	s_movk_i32 s14, 0x2fb7
	v_mul_f16_sdwa v28, v17, s25 dst_sel:DWORD dst_unused:UNUSED_PAD src0_sel:WORD_1 src1_sel:DWORD
	v_lshrrev_b32_e32 v42, 16, v20
	v_mul_f16_e32 v41, 0xbbf1, v17
	v_fma_f16 v22, v20, s14, v28
	v_add_f16_e32 v22, v22, v21
	v_fma_f16 v21, v42, s14, -v41
	v_add_f16_e32 v23, v21, v19
	v_pk_add_f16 v19, v2, v7 neg_lo:[0,1] neg_hi:[0,1]
	s_mov_b32 s15, 0xbb7b
	v_pk_add_f16 v21, v7, v2
	s_mov_b32 s16, 0xb5ac
	v_mul_f16_sdwa v29, v19, s15 dst_sel:DWORD dst_unused:UNUSED_PAD src0_sel:WORD_1 src1_sel:DWORD
	v_lshrrev_b32_e32 v43, 16, v21
	v_fma_f16 v24, v21, s16, v29
	v_mul_f16_e32 v44, 0xbb7b, v19
	v_add_f16_e32 v24, v24, v22
	v_fma_f16 v22, v43, s16, -v44
	v_add_f16_e32 v25, v22, v23
	s_mov_b32 s17, 0xb94e
	v_pk_add_f16 v22, v3, v6 neg_lo:[0,1] neg_hi:[0,1]
	s_mov_b32 s18, 0xb9fd
	v_pk_add_f16 v23, v6, v3
	v_mul_f16_sdwa v30, v22, s17 dst_sel:DWORD dst_unused:UNUSED_PAD src0_sel:WORD_1 src1_sel:DWORD
	v_fma_f16 v31, v23, s18, v30
	v_lshrrev_b32_e32 v46, 16, v23
	v_mul_f16_e32 v45, 0xb94e, v22
	v_add_f16_e32 v38, v31, v24
	v_fma_f16 v24, v46, s18, -v45
	v_add_f16_e32 v39, v24, v25
	s_mov_b32 s19, 0xb3a8
	v_pk_add_f16 v24, v4, v5 neg_lo:[0,1] neg_hi:[0,1]
	s_mov_b32 s20, 0xbbc4
	v_pk_add_f16 v25, v5, v4
	v_mul_f16_sdwa v31, v24, s19 dst_sel:DWORD dst_unused:UNUSED_PAD src0_sel:WORD_1 src1_sel:DWORD
	v_fma_f16 v40, v25, s20, v31
	v_lshrrev_b32_e32 v48, 16, v25
	v_mul_f16_e32 v47, 0xb3a8, v24
	v_add_f16_e32 v40, v40, v38
	v_fma_f16 v38, v48, s20, -v47
	v_add_f16_e32 v39, v38, v39
	v_mul_lo_u16_e32 v38, 13, v35
	s_barrier
	s_and_saveexec_b64 s[4:5], s[0:1]
	s_cbranch_execz .LBB0_7
; %bb.6:
	v_mul_f16_sdwa v49, v14, s24 dst_sel:DWORD dst_unused:UNUSED_PAD src0_sel:WORD_1 src1_sel:DWORD
	v_fma_f16 v50, v16, s11, v49
	v_mul_f16_sdwa v51, v15, s15 dst_sel:DWORD dst_unused:UNUSED_PAD src0_sel:WORD_1 src1_sel:DWORD
	v_add_f16_e32 v50, v50, v0
	v_fma_f16 v52, v18, s16, v51
	v_add_f16_e32 v50, v52, v50
	v_mul_f16_sdwa v52, v17, s19 dst_sel:DWORD dst_unused:UNUSED_PAD src0_sel:WORD_1 src1_sel:DWORD
	v_fma_f16 v53, v20, s20, v52
	s_movk_i32 s27, 0x394e
	v_add_f16_e32 v50, v53, v50
	v_mul_f16_sdwa v53, v19, s27 dst_sel:DWORD dst_unused:UNUSED_PAD src0_sel:WORD_1 src1_sel:DWORD
	v_fma_f16 v54, v21, s18, v53
	s_movk_i32 s21, 0x3bf1
	v_add_f16_e32 v50, v54, v50
	v_mul_f16_sdwa v54, v22, s21 dst_sel:DWORD dst_unused:UNUSED_PAD src0_sel:WORD_1 src1_sel:DWORD
	v_fma_f16 v55, v23, s14, v54
	s_movk_i32 s22, 0x3770
	v_add_f16_e32 v50, v55, v50
	v_mul_f16_sdwa v55, v24, s22 dst_sel:DWORD dst_unused:UNUSED_PAD src0_sel:WORD_1 src1_sel:DWORD
	v_fma_f16 v56, v25, s10, v55
	v_add_f16_e32 v50, v56, v50
	v_mul_f16_e32 v56, 0x2fb7, v33
	v_fma_f16 v57, v14, s21, v56
	v_mul_f16_e32 v58, 0xbbc4, v37
	s_movk_i32 s28, 0x33a8
	v_add_f16_sdwa v57, v57, v0 dst_sel:DWORD dst_unused:UNUSED_PAD src0_sel:DWORD src1_sel:WORD_1
	v_fma_f16 v59, v15, s28, v58
	v_add_f16_e32 v57, v59, v57
	v_mul_f16_e32 v59, 0xb5ac, v42
	v_fma_f16 v60, v17, s15, v59
	v_add_f16_e32 v57, v60, v57
	v_mul_f16_e32 v60, 0x3b15, v43
	;; [unrolled: 3-line block ×3, first 2 shown]
	s_movk_i32 s23, 0x3a95
	v_fma_f16 v62, v22, s23, v61
	v_add_f16_e32 v57, v62, v57
	v_mul_f16_e32 v62, 0xb9fd, v48
	v_fma_f16 v63, v24, s27, v62
	v_add_f16_e32 v57, v63, v57
	s_movk_i32 s29, 0x3b7b
	v_mul_f16_e32 v63, 0xb5ac, v33
	v_fma_f16 v64, v14, s29, v63
	v_mul_f16_e32 v65, 0xb9fd, v37
	v_add_f16_sdwa v64, v64, v0 dst_sel:DWORD dst_unused:UNUSED_PAD src0_sel:DWORD src1_sel:WORD_1
	v_fma_f16 v66, v15, s17, v65
	v_add_f16_e32 v64, v66, v64
	v_mul_f16_e32 v66, 0x3b15, v42
	v_fma_f16 v67, v17, s26, v66
	v_add_f16_e32 v64, v67, v64
	v_mul_f16_e32 v67, 0x2fb7, v43
	v_fma_f16 v68, v19, s21, v67
	v_add_f16_e32 v64, v68, v64
	v_mul_f16_sdwa v68, v14, s15 dst_sel:DWORD dst_unused:UNUSED_PAD src0_sel:WORD_1 src1_sel:DWORD
	v_fma_f16 v69, v16, s16, v68
	v_mul_f16_sdwa v70, v15, s27 dst_sel:DWORD dst_unused:UNUSED_PAD src0_sel:WORD_1 src1_sel:DWORD
	v_add_f16_e32 v69, v69, v0
	v_fma_f16 v71, v18, s18, v70
	v_add_f16_e32 v69, v71, v69
	v_mul_f16_sdwa v71, v17, s22 dst_sel:DWORD dst_unused:UNUSED_PAD src0_sel:WORD_1 src1_sel:DWORD
	v_fma_f16 v72, v20, s10, v71
	v_add_f16_e32 v69, v72, v69
	v_mul_f16_sdwa v72, v19, s25 dst_sel:DWORD dst_unused:UNUSED_PAD src0_sel:WORD_1 src1_sel:DWORD
	;; [unrolled: 3-line block ×4, first 2 shown]
	v_fma_f16 v75, v25, s11, v74
	v_add_f16_e32 v69, v75, v69
	v_mul_f16_e32 v75, 0xb9fd, v33
	v_fma_f16 v76, v14, s27, v75
	v_mul_f16_e32 v77, 0x2fb7, v37
	v_add_f16_sdwa v76, v76, v0 dst_sel:DWORD dst_unused:UNUSED_PAD src0_sel:DWORD src1_sel:WORD_1
	v_fma_f16 v78, v15, s25, v77
	v_add_f16_e32 v76, v78, v76
	v_mul_f16_e32 v78, 0x388b, v42
	v_fma_f16 v79, v17, s23, v78
	v_fma_f16 v63, v14, s15, v63
	v_add_f16_e32 v76, v79, v76
	v_mul_f16_e32 v79, 0xbbc4, v43
	v_add_f16_sdwa v63, v63, v0 dst_sel:DWORD dst_unused:UNUSED_PAD src0_sel:DWORD src1_sel:WORD_1
	v_fma_f16 v65, v15, s27, v65
	v_fma_f16 v80, v19, s19, v79
	;; [unrolled: 1-line block ×3, first 2 shown]
	v_add_f16_e32 v63, v65, v63
	v_fma_f16 v65, v17, s22, v66
	v_mul_f16_e32 v33, 0x3b15, v33
	v_add_f16_e32 v76, v80, v76
	v_mul_f16_e32 v80, 0x3b15, v46
	v_add_f16_sdwa v75, v75, v0 dst_sel:DWORD dst_unused:UNUSED_PAD src0_sel:DWORD src1_sel:WORD_1
	v_fma_f16 v77, v15, s21, v77
	v_add_f16_e32 v63, v65, v63
	v_fma_f16 v65, v19, s25, v67
	v_add_f16_e32 v32, v32, v33
	v_alignbit_b32 v33, v0, v0, 16
	v_fma_f16 v81, v22, s26, v80
	v_add_f16_e32 v75, v77, v75
	v_fma_f16 v77, v17, s24, v78
	v_add_f16_e32 v63, v65, v63
	v_mul_f16_e32 v65, 0xbbc4, v46
	v_pk_add_f16 v1, v1, v33 op_sel:[0,1] op_sel_hi:[1,0]
	v_add_f16_e32 v76, v81, v76
	v_mul_f16_e32 v81, 0xb5ac, v48
	v_add_f16_e32 v75, v77, v75
	v_fma_f16 v77, v19, s28, v79
	v_fma_f16 v66, v22, s28, v65
	v_pk_add_f16 v1, v10, v1
	v_fma_f16 v82, v24, s29, v81
	v_add_f16_e32 v75, v77, v75
	v_fma_f16 v77, v22, s22, v80
	v_add_f16_e32 v63, v66, v63
	v_mul_f16_e32 v66, 0x388b, v48
	v_mul_f16_e32 v37, 0x388b, v37
	v_pk_add_f16 v1, v11, v1
	v_add_f16_e32 v76, v82, v76
	v_mul_f16_sdwa v82, v14, s17 dst_sel:DWORD dst_unused:UNUSED_PAD src0_sel:WORD_1 src1_sel:DWORD
	v_add_f16_e32 v75, v77, v75
	v_fma_f16 v77, v24, s15, v81
	v_fma_f16 v67, v24, s23, v66
	v_add_f16_e32 v36, v36, v37
	v_mul_f16_e32 v37, 0x3b15, v16
	v_add_f16_sdwa v32, v32, v0 dst_sel:DWORD dst_unused:UNUSED_PAD src0_sel:DWORD src1_sel:WORD_1
	v_pk_add_f16 v1, v2, v1
	v_fma_f16 v83, v16, s18, v82
	v_add_f16_e32 v75, v77, v75
	v_fma_f16 v77, v16, s18, -v82
	v_add_f16_e32 v63, v67, v63
	v_fma_f16 v67, v16, s16, -v68
	v_fma_f16 v56, v14, s25, v56
	v_fma_f16 v49, v16, s11, -v49
	v_add_f16_e32 v32, v36, v32
	v_mul_f16_e32 v36, 0x388b, v18
	v_mul_f16_e32 v42, 0x2fb7, v42
	v_sub_f16_e32 v26, v37, v26
	v_pk_add_f16 v1, v3, v1
	v_add_f16_e32 v83, v83, v0
	v_add_f16_e32 v77, v77, v0
	v_add_f16_e32 v67, v67, v0
	v_add_f16_sdwa v56, v56, v0 dst_sel:DWORD dst_unused:UNUSED_PAD src0_sel:DWORD src1_sel:WORD_1
	v_add_f16_e32 v49, v49, v0
	v_add_f16_e32 v41, v41, v42
	v_mul_f16_e32 v42, 0x2fb7, v20
	v_sub_f16_e32 v27, v36, v27
	v_add_f16_e32 v0, v26, v0
	v_pk_add_f16 v1, v4, v1
	v_fma_f16 v58, v15, s19, v58
	v_add_f16_e32 v32, v41, v32
	v_mul_f16_e32 v41, 0xb5ac, v21
	v_mul_f16_e32 v43, 0xb5ac, v43
	v_add_f16_e32 v0, v27, v0
	v_sub_f16_e32 v27, v42, v28
	v_pk_add_f16 v1, v5, v1
	v_mul_f16_sdwa v84, v15, s21 dst_sel:DWORD dst_unused:UNUSED_PAD src0_sel:WORD_1 src1_sel:DWORD
	v_add_f16_e32 v56, v58, v56
	v_fma_f16 v58, v17, s29, v59
	v_add_f16_e32 v43, v44, v43
	v_mul_f16_e32 v44, 0xb9fd, v23
	v_mul_f16_e32 v46, 0xb9fd, v46
	v_add_f16_e32 v0, v27, v0
	v_sub_f16_e32 v29, v41, v29
	v_pk_add_f16 v1, v6, v1
	v_fma_f16 v85, v18, s14, v84
	v_add_f16_e32 v56, v58, v56
	v_fma_f16 v58, v19, s22, v60
	v_add_f16_e32 v32, v43, v32
	v_mul_f16_e32 v43, 0xbbc4, v25
	v_mul_f16_e32 v48, 0xbbc4, v48
	v_add_f16_e32 v45, v45, v46
	v_add_f16_e32 v0, v29, v0
	v_sub_f16_e32 v30, v44, v30
	v_pk_add_f16 v1, v7, v1
	v_add_f16_e32 v83, v85, v83
	v_mul_f16_sdwa v85, v17, s24 dst_sel:DWORD dst_unused:UNUSED_PAD src0_sel:WORD_1 src1_sel:DWORD
	v_add_f16_e32 v56, v58, v56
	v_fma_f16 v58, v22, s24, v61
	s_mov_b32 s24, 0x388b2fb7
	v_add_f16_e32 v32, v45, v32
	v_add_f16_e32 v47, v47, v48
	;; [unrolled: 1-line block ×3, first 2 shown]
	v_sub_f16_e32 v31, v43, v31
	v_pk_add_f16 v1, v8, v1
	v_pk_mul_f16 v46, v16, s24
	s_mov_b32 s24, 0xbbf1ba95
	s_mov_b32 s25, 0xb5acbbc4
	v_add_f16_e32 v32, v47, v32
	v_add_f16_e32 v0, v31, v0
	v_pk_add_f16 v1, v9, v1
	v_pk_fma_f16 v45, v14, s24, v46 op_sel:[0,0,1] op_sel_hi:[1,1,0] neg_lo:[1,0,0] neg_hi:[1,0,0]
	v_pk_mul_f16 v48, v18, s25
	s_mov_b32 s25, 0xb3a8bb7b
	s_mov_b32 s26, 0xbbc4b5ac
	v_pk_fma_f16 v44, v14, s24, v46 op_sel:[0,0,1] op_sel_hi:[1,1,0]
	v_lshlrev_b32_e32 v10, 2, v38
	v_pk_add_f16 v1, v12, v1
	v_pack_b32_f16 v0, v0, v32
	s_mov_b32 s24, 0xffff
	v_fma_f16 v86, v20, s11, v85
	v_pk_fma_f16 v47, v15, s25, v48 op_sel:[0,0,1] op_sel_hi:[1,1,0] neg_lo:[1,0,0] neg_hi:[1,0,0]
	v_pk_mul_f16 v37, v20, s26
	s_mov_b32 s26, 0x3b7bb3a8
	s_mov_b32 s27, 0xb9fd3b15
	v_pk_fma_f16 v46, v15, s25, v48 op_sel:[0,0,1] op_sel_hi:[1,1,0]
	ds_write2_b32 v10, v1, v0 offset1:1
	v_bfi_b32 v0, s24, v44, v45
	v_add_f16_e32 v83, v86, v83
	v_mul_f16_sdwa v86, v19, s28 dst_sel:DWORD dst_unused:UNUSED_PAD src0_sel:WORD_1 src1_sel:DWORD
	v_pk_fma_f16 v36, v17, s26, v37 op_sel:[0,0,1] op_sel_hi:[1,1,0] neg_lo:[1,0,0] neg_hi:[1,0,0]
	v_pk_mul_f16 v26, v21, s27
	s_mov_b32 s27, 0x3770394e
	s_mov_b32 s28, 0x2fb7388b
	v_pk_fma_f16 v37, v17, s26, v37 op_sel:[0,0,1] op_sel_hi:[1,1,0]
	v_pk_add_f16 v0, v0, v33
	v_bfi_b32 v1, s24, v46, v47
	v_fma_f16 v51, v18, s16, -v51
	v_pk_fma_f16 v28, v19, s27, v26 op_sel:[0,0,1] op_sel_hi:[1,1,0] neg_lo:[1,0,0] neg_hi:[1,0,0]
	v_pk_mul_f16 v27, v23, s28
	s_mov_b32 s28, 0xba953bf1
	v_pk_fma_f16 v26, v19, s27, v26 op_sel:[0,0,1] op_sel_hi:[1,1,0]
	v_pk_add_f16 v0, v1, v0
	v_bfi_b32 v1, s24, v37, v36
	v_fma_f16 v87, v21, s20, v86
	v_fma_f16 v78, v18, s14, -v84
	v_fma_f16 v68, v18, s18, -v70
	v_add_f16_e32 v49, v51, v49
	v_fma_f16 v51, v20, s20, -v52
	v_pk_fma_f16 v41, v22, s28, v27 op_sel:[0,0,1] op_sel_hi:[1,1,0] neg_lo:[1,0,0] neg_hi:[1,0,0]
	s_mov_b32 s29, 0x3b15b9fd
	v_pk_fma_f16 v27, v22, s28, v27 op_sel:[0,0,1] op_sel_hi:[1,1,0]
	v_pk_add_f16 v0, v1, v0
	v_bfi_b32 v1, s24, v26, v28
	v_add_f16_e32 v83, v87, v83
	v_mul_f16_sdwa v87, v22, s22 dst_sel:DWORD dst_unused:UNUSED_PAD src0_sel:WORD_1 src1_sel:DWORD
	v_add_f16_e32 v77, v78, v77
	v_fma_f16 v78, v20, s11, -v85
	v_add_f16_e32 v67, v68, v67
	v_fma_f16 v68, v20, s10, -v71
	v_add_f16_e32 v49, v51, v49
	v_fma_f16 v51, v21, s18, -v53
	v_pk_mul_f16 v29, v25, s29
	s_mov_b32 s29, 0xb94e3770
	v_pk_add_f16 v0, v1, v0
	v_bfi_b32 v1, s24, v27, v41
	v_fma_f16 v88, v23, s10, v87
	v_add_f16_e32 v77, v78, v77
	v_fma_f16 v78, v21, s20, -v86
	v_add_f16_e32 v67, v68, v67
	v_fma_f16 v68, v21, s14, -v72
	;; [unrolled: 2-line block ×3, first 2 shown]
	v_pk_fma_f16 v30, v24, s29, v29 op_sel:[0,0,1] op_sel_hi:[1,1,0] neg_lo:[1,0,0] neg_hi:[1,0,0]
	v_pk_add_f16 v0, v1, v0
	v_pk_fma_f16 v1, v24, s29, v29 op_sel:[0,0,1] op_sel_hi:[1,1,0]
	v_add_f16_e32 v83, v88, v83
	v_mul_f16_sdwa v88, v24, s15 dst_sel:DWORD dst_unused:UNUSED_PAD src0_sel:WORD_1 src1_sel:DWORD
	v_add_f16_e32 v77, v78, v77
	v_fma_f16 v78, v23, s10, -v87
	v_add_f16_e32 v67, v68, v67
	v_fma_f16 v68, v23, s20, -v73
	v_add_f16_e32 v56, v58, v56
	v_fma_f16 v58, v24, s17, v62
	v_add_f16_e32 v49, v51, v49
	v_fma_f16 v51, v25, s10, -v55
	v_bfi_b32 v1, s24, v1, v30
	v_add_f16_e32 v77, v78, v77
	v_fma_f16 v78, v25, s16, -v88
	v_add_f16_e32 v67, v68, v67
	v_fma_f16 v68, v25, s11, -v74
	v_add_f16_e32 v56, v58, v56
	v_add_f16_e32 v49, v51, v49
	v_pk_add_f16 v0, v1, v0
	v_add_f16_e32 v77, v78, v77
	v_add_f16_e32 v67, v68, v67
	v_alignbit_b32 v1, v56, v0, 16
	v_pack_b32_f16 v0, v49, v0
	ds_write2_b32 v10, v0, v1 offset0:2 offset1:3
	v_pack_b32_f16 v0, v77, v75
	v_pack_b32_f16 v1, v67, v63
	ds_write2_b32 v10, v1, v0 offset0:4 offset1:5
	v_pk_mul_f16 v0, v16, s20 op_sel_hi:[1,0]
	v_pk_fma_f16 v1, v14, s19, v0 op_sel:[0,0,1] op_sel_hi:[1,0,0] neg_lo:[1,0,0] neg_hi:[1,0,0]
	v_pk_mul_f16 v2, v18, s10 op_sel_hi:[1,0]
	v_pk_add_f16 v1, v1, v33
	v_pk_fma_f16 v3, v15, s22, v2 op_sel:[0,0,1] op_sel_hi:[1,0,0] neg_lo:[1,0,0] neg_hi:[1,0,0]
	v_pk_add_f16 v1, v3, v1
	v_pk_mul_f16 v3, v20, s18 op_sel_hi:[1,0]
	v_pk_fma_f16 v4, v17, s17, v3 op_sel:[0,0,1] op_sel_hi:[1,0,0] neg_lo:[1,0,0] neg_hi:[1,0,0]
	v_pk_add_f16 v1, v4, v1
	v_pk_mul_f16 v4, v21, s11 op_sel_hi:[1,0]
	v_pk_fma_f16 v0, v14, s19, v0 op_sel:[0,0,1] op_sel_hi:[1,0,0]
	v_pk_fma_f16 v5, v19, s23, v4 op_sel:[0,0,1] op_sel_hi:[1,0,0] neg_lo:[1,0,0] neg_hi:[1,0,0]
	v_pk_add_f16 v0, v0, v33
	v_pk_fma_f16 v2, v15, s22, v2 op_sel:[0,0,1] op_sel_hi:[1,0,0]
	v_pk_add_f16 v1, v5, v1
	v_pk_mul_f16 v5, v23, s16 op_sel_hi:[1,0]
	v_pk_add_f16 v0, v2, v0
	v_pk_fma_f16 v2, v17, s17, v3 op_sel:[0,0,1] op_sel_hi:[1,0,0]
	v_pk_fma_f16 v6, v22, s15, v5 op_sel:[0,0,1] op_sel_hi:[1,0,0] neg_lo:[1,0,0] neg_hi:[1,0,0]
	v_pk_add_f16 v0, v2, v0
	v_pk_fma_f16 v2, v19, s23, v4 op_sel:[0,0,1] op_sel_hi:[1,0,0]
	v_pk_add_f16 v1, v6, v1
	v_pk_mul_f16 v6, v25, s14 op_sel_hi:[1,0]
	v_pk_add_f16 v0, v2, v0
	v_pk_fma_f16 v2, v22, s15, v5 op_sel:[0,0,1] op_sel_hi:[1,0,0]
	v_pk_fma_f16 v7, v24, s21, v6 op_sel:[0,0,1] op_sel_hi:[1,0,0] neg_lo:[1,0,0] neg_hi:[1,0,0]
	v_pk_add_f16 v0, v2, v0
	v_pk_fma_f16 v2, v24, s21, v6 op_sel:[0,0,1] op_sel_hi:[1,0,0]
	v_fma_f16 v89, v25, s16, v88
	v_pk_add_f16 v31, v44, v33
	v_pk_add_f16 v1, v7, v1
	;; [unrolled: 1-line block ×3, first 2 shown]
	v_add_f16_e32 v83, v89, v83
	v_pk_add_f16 v31, v46, v31
	v_alignbit_b32 v2, v1, v0, 16
	v_alignbit_b32 v0, v0, v1, 16
	v_pk_mul_f16 v42, v24, s29
	v_pk_add_f16 v31, v37, v31
	v_fma_f16 v48, v22, s19, v65
	ds_write2_b32 v10, v0, v2 offset0:6 offset1:7
	v_pack_b32_f16 v0, v83, v76
	v_add_f16_e32 v43, v45, v33
	v_pk_add_f16 v31, v26, v31
	v_mul_f16_e32 v51, 0x3a95, v24
	ds_write_b32 v10, v0 offset:32
	v_pack_b32_f16 v0, v48, v29
	v_bfi_b32 v1, s24, v64, v42
	v_add_f16_e32 v43, v47, v43
	v_pk_add_f16 v0, v0, v1
	v_bfi_b32 v1, s24, v51, v31
	v_add_f16_e32 v43, v36, v43
	v_pk_add_f16 v1, v66, v1 neg_lo:[0,1] neg_hi:[0,1]
	v_pk_add_f16 v2, v27, v31
	v_add_f16_e32 v43, v28, v43
	v_bfi_b32 v1, s24, v1, v2
	v_add_f16_e32 v43, v41, v43
	v_pk_add_f16 v0, v1, v0
	v_add_f16_e32 v43, v30, v43
	v_alignbit_b32 v1, v57, v0, 16
	v_pack_b32_f16 v0, v69, v0
	s_mov_b32 s10, 0x5040100
	ds_write2_b32 v10, v0, v1 offset0:9 offset1:10
	v_pack_b32_f16 v0, v50, v43
	v_perm_b32 v1, v39, v40, s10
	ds_write2_b32 v10, v0, v1 offset0:11 offset1:12
.LBB0_7:
	s_or_b64 exec, exec, s[4:5]
	s_movk_i32 s4, 0x4f
	v_mul_lo_u16_sdwa v0, v35, s4 dst_sel:DWORD dst_unused:UNUSED_PAD src0_sel:BYTE_0 src1_sel:DWORD
	v_add_co_u32_e32 v12, vcc, 0x9c, v35
	v_lshrrev_b16_e32 v22, 10, v0
	s_movk_i32 s4, 0x4ec5
	v_mul_lo_u16_e32 v0, 13, v22
	v_mul_u32_u24_sdwa v1, v12, s4 dst_sel:DWORD dst_unused:UNUSED_PAD src0_sel:WORD_0 src1_sel:DWORD
	v_sub_u16_e32 v0, v35, v0
	v_lshrrev_b32_e32 v24, 18, v1
	v_and_b32_e32 v23, 0xff, v0
	v_mul_lo_u16_e32 v1, 13, v24
	v_lshlrev_b32_e32 v0, 3, v23
	v_sub_u16_e32 v25, v12, v1
	s_load_dwordx4 s[8:11], s[8:9], 0x0
	s_waitcnt lgkmcnt(0)
	s_barrier
	global_load_dwordx2 v[16:17], v0, s[2:3]
	v_lshlrev_b16_e32 v0, 1, v25
	s_movk_i32 s5, 0x138
	v_lshlrev_b32_e32 v0, 2, v0
	v_add_co_u32_e32 v26, vcc, s5, v35
	global_load_dwordx2 v[14:15], v0, s[2:3]
	v_mul_u32_u24_sdwa v0, v26, s4 dst_sel:DWORD dst_unused:UNUSED_PAD src0_sel:WORD_0 src1_sel:DWORD
	v_lshrrev_b32_e32 v27, 18, v0
	v_mul_lo_u16_e32 v0, 13, v27
	v_sub_u16_e32 v28, v26, v0
	v_lshlrev_b16_e32 v0, 1, v28
	s_movk_i32 s5, 0x1d4
	v_lshlrev_b32_e32 v0, 2, v0
	global_load_dwordx2 v[18:19], v0, s[2:3]
	v_add_co_u32_e32 v0, vcc, s5, v35
	v_mul_u32_u24_sdwa v1, v0, s4 dst_sel:DWORD dst_unused:UNUSED_PAD src0_sel:WORD_0 src1_sel:DWORD
	v_lshrrev_b32_e32 v29, 18, v1
	v_mul_lo_u16_e32 v1, 13, v29
	v_sub_u16_e32 v30, v0, v1
	v_lshlrev_b16_e32 v0, 1, v30
	v_lshlrev_b32_e32 v0, 2, v0
	global_load_dwordx2 v[20:21], v0, s[2:3]
	v_mov_b32_e32 v0, 2
	v_lshlrev_b32_sdwa v37, v0, v35 dst_sel:DWORD dst_unused:UNUSED_PAD src0_sel:DWORD src1_sel:WORD_0
	v_add_u32_e32 v36, 0x900, v37
	ds_read2_b32 v[0:1], v37 offset1:156
	v_add_u32_e32 v68, 0x1200, v37
	v_add_u32_e32 v69, 0x400, v37
	;; [unrolled: 1-line block ×4, first 2 shown]
	ds_read2_b32 v[2:3], v36 offset0:48 offset1:204
	ds_read2_b32 v[4:5], v68 offset0:96 offset1:252
	;; [unrolled: 1-line block ×5, first 2 shown]
	s_waitcnt lgkmcnt(4)
	v_lshrrev_b32_e32 v33, 16, v2
	s_waitcnt lgkmcnt(3)
	v_lshrrev_b32_e32 v41, 16, v4
	v_lshrrev_b32_e32 v42, 16, v3
	s_waitcnt lgkmcnt(1)
	v_lshrrev_b32_e32 v45, 16, v8
	;; [unrolled: 3-line block ×3, first 2 shown]
	v_lshrrev_b32_e32 v43, 16, v5
	v_lshrrev_b32_e32 v46, 16, v10
	;; [unrolled: 1-line block ×3, first 2 shown]
	s_movk_i32 s5, 0x3aee
	s_mov_b32 s4, 0xbaee
	v_lshrrev_b32_e32 v32, 16, v1
	v_lshrrev_b32_e32 v44, 16, v6
	;; [unrolled: 1-line block ×3, first 2 shown]
	s_waitcnt vmcnt(0)
	s_barrier
	s_movk_i32 s14, 0xa5
	v_mul_f16_sdwa v50, v33, v16 dst_sel:DWORD dst_unused:UNUSED_PAD src0_sel:DWORD src1_sel:WORD_1
	v_mul_f16_sdwa v51, v2, v16 dst_sel:DWORD dst_unused:UNUSED_PAD src0_sel:DWORD src1_sel:WORD_1
	v_fma_f16 v2, v2, v16, -v50
	v_fma_f16 v33, v33, v16, v51
	v_mul_f16_sdwa v52, v41, v17 dst_sel:DWORD dst_unused:UNUSED_PAD src0_sel:DWORD src1_sel:WORD_1
	v_mul_f16_sdwa v53, v4, v17 dst_sel:DWORD dst_unused:UNUSED_PAD src0_sel:DWORD src1_sel:WORD_1
	v_fma_f16 v4, v4, v17, -v52
	v_fma_f16 v41, v41, v17, v53
	v_mul_f16_sdwa v54, v42, v14 dst_sel:DWORD dst_unused:UNUSED_PAD src0_sel:DWORD src1_sel:WORD_1
	v_mul_f16_sdwa v56, v43, v15 dst_sel:DWORD dst_unused:UNUSED_PAD src0_sel:DWORD src1_sel:WORD_1
	;; [unrolled: 1-line block ×4, first 2 shown]
	v_fma_f16 v3, v3, v14, -v54
	v_fma_f16 v5, v5, v15, -v56
	v_mul_f16_sdwa v50, v45, v18 dst_sel:DWORD dst_unused:UNUSED_PAD src0_sel:DWORD src1_sel:WORD_1
	v_mul_f16_sdwa v51, v8, v18 dst_sel:DWORD dst_unused:UNUSED_PAD src0_sel:DWORD src1_sel:WORD_1
	v_fma_f16 v8, v8, v18, -v50
	v_fma_f16 v45, v45, v18, v51
	v_add_f16_e32 v51, v2, v4
	v_mul_f16_sdwa v52, v46, v19 dst_sel:DWORD dst_unused:UNUSED_PAD src0_sel:DWORD src1_sel:WORD_1
	v_mul_f16_sdwa v53, v10, v19 dst_sel:DWORD dst_unused:UNUSED_PAD src0_sel:DWORD src1_sel:WORD_1
	v_fma_f16 v10, v10, v19, -v52
	v_fma_f16 v42, v42, v14, v55
	v_mul_f16_sdwa v50, v48, v20 dst_sel:DWORD dst_unused:UNUSED_PAD src0_sel:DWORD src1_sel:WORD_1
	v_fma_f16 v50, v9, v20, -v50
	v_mul_f16_sdwa v9, v9, v20 dst_sel:DWORD dst_unused:UNUSED_PAD src0_sel:DWORD src1_sel:WORD_1
	v_fma_f16 v9, v48, v20, v9
	v_mul_f16_sdwa v48, v49, v21 dst_sel:DWORD dst_unused:UNUSED_PAD src0_sel:DWORD src1_sel:WORD_1
	v_fma_f16 v48, v11, v21, -v48
	v_mul_f16_sdwa v11, v11, v21 dst_sel:DWORD dst_unused:UNUSED_PAD src0_sel:DWORD src1_sel:WORD_1
	v_fma_f16 v11, v49, v21, v11
	v_add_f16_e32 v49, v0, v2
	v_fma_f16 v0, v51, -0.5, v0
	v_sub_f16_e32 v51, v33, v41
	v_fma_f16 v52, v51, s5, v0
	v_fma_f16 v0, v51, s4, v0
	v_add_f16_e32 v51, v31, v33
	v_add_f16_e32 v33, v33, v41
	v_fma_f16 v43, v43, v15, v57
	v_fma_f16 v31, v33, -0.5, v31
	v_sub_f16_e32 v2, v2, v4
	v_add_f16_e32 v33, v3, v5
	v_add_f16_e32 v49, v49, v4
	;; [unrolled: 1-line block ×3, first 2 shown]
	v_fma_f16 v4, v2, s4, v31
	v_fma_f16 v2, v2, s5, v31
	v_add_f16_e32 v31, v1, v3
	v_fma_f16 v1, v33, -0.5, v1
	v_sub_f16_e32 v33, v42, v43
	v_add_f16_e32 v41, v42, v43
	v_fma_f16 v46, v46, v19, v53
	v_fma_f16 v53, v33, s5, v1
	;; [unrolled: 1-line block ×3, first 2 shown]
	v_add_f16_e32 v33, v32, v42
	v_fma_f16 v32, v41, -0.5, v32
	v_sub_f16_e32 v3, v3, v5
	v_add_f16_e32 v41, v8, v10
	v_add_f16_e32 v31, v31, v5
	v_fma_f16 v5, v3, s4, v32
	v_fma_f16 v3, v3, s5, v32
	v_add_f16_e32 v32, v6, v8
	v_fma_f16 v6, v41, -0.5, v6
	v_sub_f16_e32 v41, v45, v46
	v_fma_f16 v54, v41, s5, v6
	v_fma_f16 v6, v41, s4, v6
	v_add_f16_e32 v41, v44, v45
	v_add_f16_e32 v55, v41, v46
	;; [unrolled: 1-line block ×3, first 2 shown]
	v_fma_f16 v41, v41, -0.5, v44
	v_sub_f16_e32 v8, v8, v10
	v_add_f16_e32 v32, v32, v10
	v_fma_f16 v10, v8, s4, v41
	v_fma_f16 v8, v8, s5, v41
	v_add_f16_e32 v41, v7, v50
	v_add_f16_e32 v45, v41, v48
	v_add_f16_e32 v41, v50, v48
	v_fma_f16 v7, v41, -0.5, v7
	v_sub_f16_e32 v41, v9, v11
	v_fma_f16 v46, v41, s5, v7
	v_fma_f16 v7, v41, s4, v7
	v_add_f16_e32 v41, v47, v9
	v_add_f16_e32 v9, v9, v11
	;; [unrolled: 1-line block ×3, first 2 shown]
	v_fma_f16 v9, v9, -0.5, v47
	v_sub_f16_e32 v11, v50, v48
	v_fma_f16 v47, v11, s4, v9
	v_fma_f16 v9, v11, s5, v9
	v_mul_u32_u24_e32 v11, 39, v22
	v_add_lshl_u32 v41, v11, v23, 2
	v_pack_b32_f16 v0, v0, v2
	v_add_f16_e32 v33, v33, v43
	ds_write_b32 v41, v0 offset:104
	v_mad_legacy_u16 v0, v24, 39, v25
	v_pack_b32_f16 v11, v49, v51
	v_pack_b32_f16 v4, v52, v4
	v_lshlrev_b32_e32 v42, 2, v0
	v_pack_b32_f16 v0, v31, v33
	v_pack_b32_f16 v2, v53, v5
	ds_write2_b32 v41, v11, v4 offset1:13
	ds_write2_b32 v42, v0, v2 offset1:13
	v_pack_b32_f16 v0, v1, v3
	ds_write_b32 v42, v0 offset:104
	v_mad_legacy_u16 v0, v27, 39, v28
	v_lshlrev_b32_e32 v43, 2, v0
	v_pack_b32_f16 v0, v32, v55
	v_pack_b32_f16 v1, v54, v10
	ds_write2_b32 v43, v0, v1 offset1:13
	v_pack_b32_f16 v0, v6, v8
	ds_write_b32 v43, v0 offset:104
	v_mad_legacy_u16 v0, v29, 39, v30
	v_lshlrev_b32_e32 v44, 2, v0
	v_pack_b32_f16 v0, v45, v56
	v_pack_b32_f16 v1, v46, v47
	ds_write2_b32 v44, v0, v1 offset1:13
	v_pack_b32_f16 v0, v7, v9
	ds_write_b32 v44, v0 offset:104
	v_mul_lo_u16_sdwa v0, v35, s14 dst_sel:DWORD dst_unused:UNUSED_PAD src0_sel:BYTE_0 src1_sel:DWORD
	v_sub_u16_sdwa v1, v35, v0 dst_sel:DWORD dst_unused:UNUSED_PAD src0_sel:DWORD src1_sel:BYTE_1
	v_lshrrev_b16_e32 v1, 1, v1
	v_and_b32_e32 v1, 0x7f, v1
	v_add_u16_sdwa v0, v1, v0 dst_sel:DWORD dst_unused:UNUSED_PAD src0_sel:DWORD src1_sel:BYTE_1
	v_lshrrev_b16_e32 v0, 5, v0
	v_and_b32_e32 v30, 7, v0
	v_mul_lo_u16_e32 v0, 39, v30
	v_sub_u16_e32 v0, v35, v0
	v_and_b32_e32 v31, 0xff, v0
	v_mad_u64_u32 v[0:1], s[14:15], v31, 12, s[2:3]
	s_mov_b32 s14, 0xa41b
	s_waitcnt lgkmcnt(0)
	s_barrier
	global_load_dwordx3 v[4:6], v[0:1], off offset:104
	v_mul_u32_u24_sdwa v0, v12, s14 dst_sel:DWORD dst_unused:UNUSED_PAD src0_sel:WORD_0 src1_sel:DWORD
	v_sub_u16_sdwa v1, v12, v0 dst_sel:DWORD dst_unused:UNUSED_PAD src0_sel:DWORD src1_sel:WORD_1
	v_lshrrev_b16_e32 v1, 1, v1
	v_add_u16_sdwa v0, v1, v0 dst_sel:DWORD dst_unused:UNUSED_PAD src0_sel:DWORD src1_sel:WORD_1
	v_lshrrev_b16_e32 v32, 5, v0
	v_mul_lo_u16_e32 v0, 39, v32
	v_sub_u16_e32 v33, v12, v0
	v_mul_lo_u16_e32 v0, 12, v33
	v_mov_b32_e32 v2, s3
	v_add_co_u32_e32 v0, vcc, s2, v0
	v_addc_co_u32_e32 v1, vcc, 0, v2, vcc
	global_load_dwordx3 v[7:9], v[0:1], off offset:104
	v_mul_u32_u24_sdwa v0, v26, s14 dst_sel:DWORD dst_unused:UNUSED_PAD src0_sel:WORD_0 src1_sel:DWORD
	v_sub_u16_sdwa v1, v26, v0 dst_sel:DWORD dst_unused:UNUSED_PAD src0_sel:DWORD src1_sel:WORD_1
	v_lshrrev_b16_e32 v1, 1, v1
	v_add_u16_sdwa v0, v1, v0 dst_sel:DWORD dst_unused:UNUSED_PAD src0_sel:DWORD src1_sel:WORD_1
	v_lshrrev_b16_e32 v45, 5, v0
	v_mul_lo_u16_e32 v0, 39, v45
	v_sub_u16_e32 v48, v26, v0
	v_mul_lo_u16_e32 v0, 12, v48
	v_add_co_u32_e32 v0, vcc, s2, v0
	v_addc_co_u32_e32 v1, vcc, 0, v2, vcc
	global_load_dwordx3 v[10:12], v[0:1], off offset:104
	ds_read2_b32 v[0:1], v37 offset1:156
	ds_read2_b32 v[2:3], v69 offset0:56 offset1:212
	ds_read2_b32 v[22:23], v70 offset0:40 offset1:196
	;; [unrolled: 1-line block ×5, first 2 shown]
	s_waitcnt lgkmcnt(4)
	v_lshrrev_b32_e32 v47, 16, v3
	s_waitcnt lgkmcnt(3)
	v_lshrrev_b32_e32 v49, 16, v22
	;; [unrolled: 2-line block ×4, first 2 shown]
	v_lshrrev_b32_e32 v53, 16, v23
	s_waitcnt lgkmcnt(0)
	v_lshrrev_b32_e32 v54, 16, v28
	v_lshrrev_b32_e32 v56, 16, v27
	;; [unrolled: 1-line block ×5, first 2 shown]
	s_movk_i32 s14, 0x9c
	v_lshrrev_b32_e32 v51, 16, v1
	v_mul_u32_u24_sdwa v30, v30, s14 dst_sel:DWORD dst_unused:UNUSED_PAD src0_sel:WORD_0 src1_sel:DWORD
	v_lshrrev_b32_e32 v55, 16, v2
	s_waitcnt vmcnt(0)
	s_barrier
	v_mul_f16_sdwa v59, v47, v4 dst_sel:DWORD dst_unused:UNUSED_PAD src0_sel:DWORD src1_sel:WORD_1
	v_fma_f16 v59, v3, v4, -v59
	v_mul_f16_sdwa v3, v3, v4 dst_sel:DWORD dst_unused:UNUSED_PAD src0_sel:DWORD src1_sel:WORD_1
	v_fma_f16 v3, v47, v4, v3
	v_mul_f16_sdwa v47, v49, v5 dst_sel:DWORD dst_unused:UNUSED_PAD src0_sel:DWORD src1_sel:WORD_1
	v_fma_f16 v47, v22, v5, -v47
	v_mul_f16_sdwa v22, v22, v5 dst_sel:DWORD dst_unused:UNUSED_PAD src0_sel:DWORD src1_sel:WORD_1
	v_fma_f16 v22, v49, v5, v22
	;; [unrolled: 4-line block ×3, first 2 shown]
	v_sub_f16_e32 v22, v46, v22
	v_sub_f16_e32 v25, v3, v25
	v_mul_f16_sdwa v50, v52, v7 dst_sel:DWORD dst_unused:UNUSED_PAD src0_sel:DWORD src1_sel:WORD_1
	v_fma_f16 v50, v26, v7, -v50
	v_mul_f16_sdwa v26, v26, v7 dst_sel:DWORD dst_unused:UNUSED_PAD src0_sel:DWORD src1_sel:WORD_1
	v_fma_f16 v26, v52, v7, v26
	v_mul_f16_sdwa v52, v53, v8 dst_sel:DWORD dst_unused:UNUSED_PAD src0_sel:DWORD src1_sel:WORD_1
	v_fma_f16 v52, v23, v8, -v52
	v_mul_f16_sdwa v23, v23, v8 dst_sel:DWORD dst_unused:UNUSED_PAD src0_sel:DWORD src1_sel:WORD_1
	v_fma_f16 v23, v53, v8, v23
	;; [unrolled: 4-line block ×3, first 2 shown]
	v_fma_f16 v46, v46, 2.0, -v22
	v_mul_f16_sdwa v54, v56, v10 dst_sel:DWORD dst_unused:UNUSED_PAD src0_sel:DWORD src1_sel:WORD_1
	v_fma_f16 v54, v27, v10, -v54
	v_mul_f16_sdwa v27, v27, v10 dst_sel:DWORD dst_unused:UNUSED_PAD src0_sel:DWORD src1_sel:WORD_1
	v_fma_f16 v27, v56, v10, v27
	v_mul_f16_sdwa v56, v57, v11 dst_sel:DWORD dst_unused:UNUSED_PAD src0_sel:DWORD src1_sel:WORD_1
	v_fma_f16 v56, v24, v11, -v56
	v_mul_f16_sdwa v24, v24, v11 dst_sel:DWORD dst_unused:UNUSED_PAD src0_sel:DWORD src1_sel:WORD_1
	v_fma_f16 v24, v57, v11, v24
	v_mul_f16_sdwa v57, v58, v12 dst_sel:DWORD dst_unused:UNUSED_PAD src0_sel:DWORD src1_sel:WORD_1
	v_fma_f16 v3, v3, 2.0, -v25
	v_fma_f16 v57, v29, v12, -v57
	v_mul_f16_sdwa v29, v29, v12 dst_sel:DWORD dst_unused:UNUSED_PAD src0_sel:DWORD src1_sel:WORD_1
	v_sub_f16_e32 v49, v59, v49
	v_sub_f16_e32 v3, v46, v3
	v_fma_f16 v29, v58, v12, v29
	v_sub_f16_e32 v47, v0, v47
	v_fma_f16 v58, v59, 2.0, -v49
	v_fma_f16 v59, v46, 2.0, -v3
	v_sub_f16_e32 v46, v1, v52
	v_sub_f16_e32 v28, v26, v28
	v_fma_f16 v0, v0, 2.0, -v47
	v_fma_f16 v26, v26, 2.0, -v28
	v_sub_f16_e32 v28, v46, v28
	v_sub_f16_e32 v58, v0, v58
	;; [unrolled: 1-line block ×3, first 2 shown]
	v_add_f16_e32 v49, v22, v49
	v_fma_f16 v1, v1, 2.0, -v46
	v_sub_f16_e32 v52, v50, v53
	v_fma_f16 v53, v46, 2.0, -v28
	v_sub_f16_e32 v46, v2, v56
	v_sub_f16_e32 v29, v27, v29
	v_fma_f16 v0, v0, 2.0, -v58
	v_fma_f16 v47, v47, 2.0, -v25
	;; [unrolled: 1-line block ×3, first 2 shown]
	v_sub_f16_e32 v23, v51, v23
	v_fma_f16 v27, v27, 2.0, -v29
	v_sub_f16_e32 v29, v46, v29
	v_fma_f16 v51, v51, 2.0, -v23
	v_fma_f16 v50, v50, 2.0, -v52
	v_fma_f16 v2, v2, 2.0, -v46
	v_sub_f16_e32 v56, v54, v57
	v_fma_f16 v57, v46, 2.0, -v29
	v_add_lshl_u32 v46, v30, v31, 2
	v_pack_b32_f16 v0, v0, v59
	v_pack_b32_f16 v22, v47, v22
	v_sub_f16_e32 v50, v1, v50
	v_sub_f16_e32 v26, v51, v26
	v_add_f16_e32 v52, v23, v52
	ds_write2_b32 v46, v0, v22 offset1:39
	v_pack_b32_f16 v0, v58, v3
	v_pack_b32_f16 v3, v25, v49
	v_fma_f16 v1, v1, 2.0, -v50
	v_fma_f16 v51, v51, 2.0, -v26
	;; [unrolled: 1-line block ×3, first 2 shown]
	v_sub_f16_e32 v24, v55, v24
	ds_write2_b32 v46, v0, v3 offset0:78 offset1:117
	v_mad_legacy_u16 v0, v32, s14, v33
	v_fma_f16 v55, v55, 2.0, -v24
	v_fma_f16 v54, v54, 2.0, -v56
	v_lshlrev_b32_e32 v47, 2, v0
	v_pack_b32_f16 v0, v1, v51
	v_pack_b32_f16 v1, v53, v23
	v_sub_f16_e32 v54, v2, v54
	v_sub_f16_e32 v27, v55, v27
	v_add_f16_e32 v56, v24, v56
	ds_write2_b32 v47, v0, v1 offset1:39
	v_pack_b32_f16 v0, v50, v26
	v_pack_b32_f16 v1, v28, v52
	v_mad_u64_u32 v[22:23], s[2:3], v35, 20, s[2:3]
	v_fma_f16 v2, v2, 2.0, -v54
	v_fma_f16 v55, v55, 2.0, -v27
	;; [unrolled: 1-line block ×3, first 2 shown]
	ds_write2_b32 v47, v0, v1 offset0:78 offset1:117
	v_mad_legacy_u16 v0, v45, s14, v48
	v_lshlrev_b32_e32 v48, 2, v0
	v_pack_b32_f16 v0, v2, v55
	v_pack_b32_f16 v1, v57, v24
	ds_write2_b32 v48, v0, v1 offset1:39
	v_pack_b32_f16 v0, v54, v27
	v_pack_b32_f16 v1, v29, v56
	ds_write2_b32 v48, v0, v1 offset0:78 offset1:117
	s_waitcnt lgkmcnt(0)
	s_barrier
	global_load_dwordx4 v[0:3], v[22:23], off offset:572
	global_load_dword v45, v[22:23], off offset:588
	ds_read2_b32 v[24:25], v37 offset1:156
	ds_read2_b32 v[26:27], v69 offset0:56 offset1:212
	ds_read2_b32 v[28:29], v36 offset0:48 offset1:204
	;; [unrolled: 1-line block ×5, first 2 shown]
	s_waitcnt lgkmcnt(4)
	v_lshrrev_b32_e32 v52, 16, v26
	s_waitcnt lgkmcnt(3)
	v_lshrrev_b32_e32 v53, 16, v28
	;; [unrolled: 2-line block ×5, first 2 shown]
	v_lshrrev_b32_e32 v58, 16, v27
	v_lshrrev_b32_e32 v59, 16, v29
	;; [unrolled: 1-line block ×7, first 2 shown]
	s_waitcnt vmcnt(0)
	s_barrier
	v_mul_f16_sdwa v63, v52, v0 dst_sel:DWORD dst_unused:UNUSED_PAD src0_sel:DWORD src1_sel:WORD_1
	v_fma_f16 v63, v26, v0, -v63
	v_mul_f16_sdwa v26, v26, v0 dst_sel:DWORD dst_unused:UNUSED_PAD src0_sel:DWORD src1_sel:WORD_1
	v_fma_f16 v26, v52, v0, v26
	v_mul_f16_sdwa v52, v53, v1 dst_sel:DWORD dst_unused:UNUSED_PAD src0_sel:DWORD src1_sel:WORD_1
	v_fma_f16 v52, v28, v1, -v52
	v_mul_f16_sdwa v28, v28, v1 dst_sel:DWORD dst_unused:UNUSED_PAD src0_sel:DWORD src1_sel:WORD_1
	v_fma_f16 v28, v53, v1, v28
	v_mul_f16_sdwa v53, v54, v2 dst_sel:DWORD dst_unused:UNUSED_PAD src0_sel:DWORD src1_sel:WORD_1
	v_fma_f16 v53, v30, v2, -v53
	v_mul_f16_sdwa v30, v30, v2 dst_sel:DWORD dst_unused:UNUSED_PAD src0_sel:DWORD src1_sel:WORD_1
	v_fma_f16 v30, v54, v2, v30
	v_mul_f16_sdwa v54, v55, v3 dst_sel:DWORD dst_unused:UNUSED_PAD src0_sel:DWORD src1_sel:WORD_1
	v_fma_f16 v54, v32, v3, -v54
	v_mul_f16_sdwa v32, v32, v3 dst_sel:DWORD dst_unused:UNUSED_PAD src0_sel:DWORD src1_sel:WORD_1
	v_fma_f16 v32, v55, v3, v32
	v_mul_f16_sdwa v55, v56, v45 dst_sel:DWORD dst_unused:UNUSED_PAD src0_sel:DWORD src1_sel:WORD_1
	v_fma_f16 v55, v49, v45, -v55
	v_mul_f16_sdwa v49, v49, v45 dst_sel:DWORD dst_unused:UNUSED_PAD src0_sel:DWORD src1_sel:WORD_1
	v_fma_f16 v49, v56, v45, v49
	v_mul_f16_sdwa v56, v58, v0 dst_sel:DWORD dst_unused:UNUSED_PAD src0_sel:DWORD src1_sel:WORD_1
	v_fma_f16 v56, v27, v0, -v56
	v_mul_f16_sdwa v27, v27, v0 dst_sel:DWORD dst_unused:UNUSED_PAD src0_sel:DWORD src1_sel:WORD_1
	v_fma_f16 v27, v58, v0, v27
	v_mul_f16_sdwa v58, v59, v1 dst_sel:DWORD dst_unused:UNUSED_PAD src0_sel:DWORD src1_sel:WORD_1
	v_fma_f16 v58, v29, v1, -v58
	v_mul_f16_sdwa v29, v29, v1 dst_sel:DWORD dst_unused:UNUSED_PAD src0_sel:DWORD src1_sel:WORD_1
	v_fma_f16 v29, v59, v1, v29
	v_mul_f16_sdwa v59, v60, v2 dst_sel:DWORD dst_unused:UNUSED_PAD src0_sel:DWORD src1_sel:WORD_1
	v_fma_f16 v59, v31, v2, -v59
	v_mul_f16_sdwa v31, v31, v2 dst_sel:DWORD dst_unused:UNUSED_PAD src0_sel:DWORD src1_sel:WORD_1
	v_fma_f16 v31, v60, v2, v31
	v_mul_f16_sdwa v60, v61, v3 dst_sel:DWORD dst_unused:UNUSED_PAD src0_sel:DWORD src1_sel:WORD_1
	v_fma_f16 v60, v33, v3, -v60
	v_mul_f16_sdwa v33, v33, v3 dst_sel:DWORD dst_unused:UNUSED_PAD src0_sel:DWORD src1_sel:WORD_1
	v_fma_f16 v33, v61, v3, v33
	v_mul_f16_sdwa v61, v62, v45 dst_sel:DWORD dst_unused:UNUSED_PAD src0_sel:DWORD src1_sel:WORD_1
	v_fma_f16 v61, v50, v45, -v61
	v_mul_f16_sdwa v50, v50, v45 dst_sel:DWORD dst_unused:UNUSED_PAD src0_sel:DWORD src1_sel:WORD_1
	v_add_f16_e32 v64, v52, v54
	v_fma_f16 v50, v62, v45, v50
	v_add_f16_e32 v62, v24, v52
	v_fma_f16 v24, v64, -0.5, v24
	v_sub_f16_e32 v64, v28, v32
	v_fma_f16 v65, v64, s5, v24
	v_fma_f16 v24, v64, s4, v24
	v_add_f16_e32 v64, v51, v28
	v_add_f16_e32 v64, v64, v32
	;; [unrolled: 1-line block ×3, first 2 shown]
	v_sub_f16_e32 v32, v52, v54
	v_add_f16_e32 v52, v53, v55
	v_add_f16_e32 v62, v62, v54
	v_fma_f16 v28, v28, -0.5, v51
	v_fma_f16 v52, v52, -0.5, v63
	v_sub_f16_e32 v54, v30, v49
	v_fma_f16 v51, v32, s4, v28
	v_fma_f16 v28, v32, s5, v28
	v_add_f16_e32 v32, v63, v53
	v_fma_f16 v63, v54, s5, v52
	v_fma_f16 v52, v54, s4, v52
	v_add_f16_e32 v54, v26, v30
	v_add_f16_e32 v30, v30, v49
	v_fma_f16 v26, v30, -0.5, v26
	v_sub_f16_e32 v30, v53, v55
	v_add_f16_e32 v54, v54, v49
	v_fma_f16 v49, v30, s4, v26
	v_mul_f16_e32 v53, 0x3aee, v49
	v_fma_f16 v26, v30, s5, v26
	v_fma_f16 v53, v63, 0.5, v53
	v_mul_f16_e32 v66, -0.5, v52
	v_mul_f16_e32 v63, 0xbaee, v63
	v_fma_f16 v66, v26, s5, v66
	v_fma_f16 v49, v49, 0.5, v63
	v_mul_f16_e32 v26, -0.5, v26
	v_add_f16_e32 v63, v51, v49
	v_fma_f16 v26, v52, s4, v26
	v_sub_f16_e32 v49, v51, v49
	v_add_f16_e32 v51, v58, v60
	v_add_f16_e32 v32, v32, v55
	;; [unrolled: 1-line block ×3, first 2 shown]
	v_sub_f16_e32 v26, v28, v26
	v_add_f16_e32 v28, v25, v58
	v_fma_f16 v25, v51, -0.5, v25
	v_sub_f16_e32 v51, v29, v33
	v_add_f16_e32 v30, v62, v32
	v_sub_f16_e32 v32, v62, v32
	v_fma_f16 v62, v51, s5, v25
	v_fma_f16 v25, v51, s4, v25
	v_add_f16_e32 v51, v57, v29
	v_add_f16_e32 v29, v29, v33
	;; [unrolled: 1-line block ×3, first 2 shown]
	v_fma_f16 v29, v29, -0.5, v57
	v_sub_f16_e32 v33, v58, v60
	v_add_f16_e32 v58, v59, v61
	v_fma_f16 v57, v33, s4, v29
	v_fma_f16 v29, v33, s5, v29
	v_add_f16_e32 v33, v56, v59
	v_fma_f16 v56, v58, -0.5, v56
	v_sub_f16_e32 v58, v31, v50
	v_add_f16_e32 v28, v28, v60
	v_fma_f16 v60, v58, s5, v56
	v_fma_f16 v56, v58, s4, v56
	v_add_f16_e32 v58, v27, v31
	v_add_f16_e32 v31, v31, v50
	v_fma_f16 v27, v31, -0.5, v27
	v_sub_f16_e32 v31, v59, v61
	v_add_f16_e32 v72, v64, v54
	v_sub_f16_e32 v54, v64, v54
	v_add_f16_e32 v58, v58, v50
	v_fma_f16 v50, v31, s4, v27
	v_fma_f16 v27, v31, s5, v27
	v_mul_f16_e32 v64, -0.5, v56
	v_fma_f16 v64, v27, s5, v64
	v_mul_f16_e32 v27, -0.5, v27
	v_add_f16_e32 v55, v65, v53
	v_mul_f16_e32 v59, 0x3aee, v50
	v_fma_f16 v27, v56, s4, v27
	v_add_f16_e32 v71, v24, v66
	v_fma_f16 v59, v60, 0.5, v59
	v_mul_f16_e32 v60, 0xbaee, v60
	v_add_f16_e32 v56, v29, v27
	v_sub_f16_e32 v27, v29, v27
	v_pack_b32_f16 v29, v30, v72
	v_pack_b32_f16 v30, v55, v63
	v_sub_f16_e32 v53, v65, v53
	v_sub_f16_e32 v24, v24, v66
	v_add_f16_e32 v33, v33, v61
	v_fma_f16 v50, v50, 0.5, v60
	ds_write2_b32 v37, v29, v30 offset1:156
	v_pack_b32_f16 v29, v71, v52
	v_pack_b32_f16 v30, v32, v54
	v_add_f16_e32 v31, v28, v33
	v_add_f16_e32 v61, v62, v59
	;; [unrolled: 1-line block ×4, first 2 shown]
	ds_write2_b32 v69, v29, v30 offset0:56 offset1:212
	v_pack_b32_f16 v29, v53, v49
	v_pack_b32_f16 v24, v24, v26
	v_add_f16_e32 v65, v25, v64
	v_sub_f16_e32 v28, v28, v33
	v_sub_f16_e32 v51, v51, v58
	ds_write2_b32 v36, v29, v24 offset0:48 offset1:204
	v_pack_b32_f16 v24, v31, v66
	v_pack_b32_f16 v26, v61, v60
	v_sub_f16_e32 v33, v62, v59
	v_sub_f16_e32 v25, v25, v64
	;; [unrolled: 1-line block ×3, first 2 shown]
	ds_write2_b32 v70, v24, v26 offset0:40 offset1:196
	v_pack_b32_f16 v24, v65, v56
	v_pack_b32_f16 v26, v28, v51
	ds_write2_b32 v68, v24, v26 offset0:96 offset1:252
	v_pack_b32_f16 v24, v33, v50
	v_pack_b32_f16 v25, v25, v27
	ds_write2_b32 v67, v24, v25 offset0:24 offset1:180
	v_lshlrev_b32_e32 v24, 4, v35
	v_sub_co_u32_e32 v22, vcc, v22, v24
	v_subbrev_co_u32_e32 v23, vcc, 0, v23, vcc
	s_waitcnt lgkmcnt(0)
	s_barrier
	global_load_dword v49, v[22:23], off offset:3692
	s_movk_i32 s4, 0x1000
	v_add_co_u32_e32 v22, vcc, s4, v22
	v_addc_co_u32_e32 v23, vcc, 0, v23, vcc
	global_load_dword v50, v[22:23], off offset:220
	global_load_dword v51, v[22:23], off offset:844
	;; [unrolled: 1-line block ×5, first 2 shown]
	ds_read2_b32 v[25:26], v37 offset1:156
	ds_read2_b32 v[22:23], v70 offset0:40 offset1:196
	ds_read2_b32 v[27:28], v68 offset0:96 offset1:252
	;; [unrolled: 1-line block ×5, first 2 shown]
	s_waitcnt lgkmcnt(5)
	v_lshrrev_b32_e32 v24, 16, v25
	s_waitcnt lgkmcnt(4)
	v_lshrrev_b32_e32 v33, 16, v22
	v_lshrrev_b32_e32 v55, 16, v23
	s_waitcnt lgkmcnt(3)
	v_lshrrev_b32_e32 v56, 16, v27
	;; [unrolled: 3-line block ×3, first 2 shown]
	v_lshrrev_b32_e32 v62, 16, v32
	v_lshrrev_b32_e32 v58, 16, v26
	;; [unrolled: 1-line block ×6, first 2 shown]
	s_waitcnt vmcnt(5)
	v_mul_f16_sdwa v63, v33, v49 dst_sel:DWORD dst_unused:UNUSED_PAD src0_sel:DWORD src1_sel:WORD_1
	v_fma_f16 v63, v22, v49, -v63
	v_mul_f16_sdwa v22, v22, v49 dst_sel:DWORD dst_unused:UNUSED_PAD src0_sel:DWORD src1_sel:WORD_1
	v_fma_f16 v22, v33, v49, v22
	s_waitcnt vmcnt(4)
	v_mul_f16_sdwa v33, v55, v50 dst_sel:DWORD dst_unused:UNUSED_PAD src0_sel:DWORD src1_sel:WORD_1
	v_fma_f16 v33, v23, v50, -v33
	v_mul_f16_sdwa v23, v23, v50 dst_sel:DWORD dst_unused:UNUSED_PAD src0_sel:DWORD src1_sel:WORD_1
	v_fma_f16 v72, v55, v50, v23
	;; [unrolled: 5-line block ×6, first 2 shown]
	v_sub_f16_e32 v23, v25, v63
	v_sub_f16_e32 v56, v24, v22
	v_fma_f16 v22, v25, 2.0, -v23
	v_sub_f16_e32 v25, v26, v33
	v_sub_f16_e32 v27, v29, v73
	v_fma_f16 v55, v24, 2.0, -v56
	v_sub_f16_e32 v57, v58, v72
	v_fma_f16 v24, v26, 2.0, -v25
	v_fma_f16 v26, v29, 2.0, -v27
	v_sub_f16_e32 v29, v30, v75
	v_sub_f16_e32 v31, v65, v76
	v_fma_f16 v58, v58, 2.0, -v57
	v_sub_f16_e32 v62, v61, v28
	v_fma_f16 v28, v30, 2.0, -v29
	v_fma_f16 v30, v65, 2.0, -v31
	v_sub_f16_e32 v33, v66, v78
	v_sub_f16_e32 v65, v71, v32
	;; [unrolled: 1-line block ×3, first 2 shown]
	v_fma_f16 v32, v66, 2.0, -v33
	v_fma_f16 v66, v71, 2.0, -v65
	v_pack_b32_f16 v71, v22, v55
	v_pack_b32_f16 v73, v24, v58
	v_fma_f16 v60, v60, 2.0, -v59
	v_fma_f16 v61, v61, 2.0, -v62
	v_pack_b32_f16 v72, v23, v56
	ds_write2_b32 v37, v71, v73 offset1:156
	v_pack_b32_f16 v71, v25, v57
	v_sub_f16_e32 v63, v64, v77
	ds_write2_b32 v70, v72, v71 offset0:40 offset1:196
	v_pack_b32_f16 v70, v26, v60
	v_pack_b32_f16 v72, v28, v61
	v_fma_f16 v64, v64, 2.0, -v63
	v_pack_b32_f16 v71, v27, v59
	ds_write2_b32 v69, v70, v72 offset0:56 offset1:212
	v_pack_b32_f16 v69, v29, v62
	ds_write2_b32 v68, v71, v69 offset0:96 offset1:252
	v_pack_b32_f16 v68, v30, v64
	v_pack_b32_f16 v70, v32, v66
	;; [unrolled: 1-line block ×3, first 2 shown]
	ds_write2_b32 v36, v68, v70 offset0:48 offset1:204
	v_pack_b32_f16 v36, v33, v65
	ds_write2_b32 v67, v69, v36 offset0:24 offset1:180
	v_lshlrev_b32_e32 v36, 2, v35
	s_waitcnt lgkmcnt(0)
	s_barrier
	s_and_saveexec_b64 s[2:3], s[0:1]
	s_cbranch_execz .LBB0_9
; %bb.8:
	v_mov_b32_e32 v67, s7
	v_add_co_u32_e32 v71, vcc, s6, v34
	v_addc_co_u32_e32 v72, vcc, 0, v67, vcc
	v_add_co_u32_e32 v67, vcc, 0x1d40, v71
	v_addc_co_u32_e32 v68, vcc, 0, v72, vcc
	;; [unrolled: 2-line block ×3, first 2 shown]
	global_load_dword v73, v[69:70], off offset:3392
	global_load_dword v75, v[67:68], off offset:576
	;; [unrolled: 1-line block ×8, first 2 shown]
	s_movk_i32 s4, 0x2000
	v_add_co_u32_e32 v67, vcc, s4, v71
	v_addc_co_u32_e32 v68, vcc, 0, v72, vcc
	global_load_dword v82, v[67:68], off offset:3904
	s_movk_i32 s4, 0x3000
	v_add_co_u32_e32 v67, vcc, s4, v71
	v_addc_co_u32_e32 v68, vcc, 0, v72, vcc
	global_load_dword v83, v[67:68], off offset:384
	global_load_dword v84, v[67:68], off offset:960
	;; [unrolled: 1-line block ×4, first 2 shown]
	ds_read_b32 v69, v37
	v_add_u32_e32 v85, 0x200, v36
	v_add_u32_e32 v86, 0x600, v36
	;; [unrolled: 1-line block ×4, first 2 shown]
	s_waitcnt lgkmcnt(0)
	v_lshrrev_b32_e32 v70, 16, v69
	s_waitcnt vmcnt(12)
	v_mul_f16_sdwa v71, v70, v73 dst_sel:DWORD dst_unused:UNUSED_PAD src0_sel:DWORD src1_sel:WORD_1
	v_mul_f16_sdwa v72, v69, v73 dst_sel:DWORD dst_unused:UNUSED_PAD src0_sel:DWORD src1_sel:WORD_1
	v_fma_f16 v69, v69, v73, -v71
	v_fma_f16 v70, v70, v73, v72
	v_pack_b32_f16 v69, v69, v70
	ds_write_b32 v37, v69
	ds_read2_b32 v[69:70], v85 offset0:16 offset1:160
	ds_read2_b32 v[67:68], v86 offset0:48 offset1:192
	ds_read2_b32 v[71:72], v87 offset0:80 offset1:224
	ds_read2_b32 v[73:74], v88 offset0:48 offset1:192
	s_waitcnt lgkmcnt(2)
	v_lshrrev_b32_e32 v95, 16, v67
	v_lshrrev_b32_e32 v91, 16, v69
	s_waitcnt vmcnt(11)
	v_mul_f16_sdwa v92, v69, v75 dst_sel:DWORD dst_unused:UNUSED_PAD src0_sel:DWORD src1_sel:WORD_1
	v_lshrrev_b32_e32 v93, 16, v70
	s_waitcnt vmcnt(10)
	v_mul_f16_sdwa v94, v70, v76 dst_sel:DWORD dst_unused:UNUSED_PAD src0_sel:DWORD src1_sel:WORD_1
	s_waitcnt vmcnt(9)
	v_mul_f16_sdwa v96, v67, v77 dst_sel:DWORD dst_unused:UNUSED_PAD src0_sel:DWORD src1_sel:WORD_1
	v_lshrrev_b32_e32 v97, 16, v68
	s_waitcnt vmcnt(8)
	v_mul_f16_sdwa v98, v68, v78 dst_sel:DWORD dst_unused:UNUSED_PAD src0_sel:DWORD src1_sel:WORD_1
	s_waitcnt lgkmcnt(1)
	v_lshrrev_b32_e32 v99, 16, v71
	s_waitcnt vmcnt(7)
	v_mul_f16_sdwa v100, v71, v79 dst_sel:DWORD dst_unused:UNUSED_PAD src0_sel:DWORD src1_sel:WORD_1
	v_lshrrev_b32_e32 v101, 16, v72
	v_mul_f16_sdwa v105, v91, v75 dst_sel:DWORD dst_unused:UNUSED_PAD src0_sel:DWORD src1_sel:WORD_1
	v_fma_f16 v91, v91, v75, v92
	v_mul_f16_sdwa v92, v93, v76 dst_sel:DWORD dst_unused:UNUSED_PAD src0_sel:DWORD src1_sel:WORD_1
	s_waitcnt vmcnt(6)
	v_mul_f16_sdwa v102, v72, v80 dst_sel:DWORD dst_unused:UNUSED_PAD src0_sel:DWORD src1_sel:WORD_1
	v_fma_f16 v93, v93, v76, v94
	v_mul_f16_sdwa v94, v95, v77 dst_sel:DWORD dst_unused:UNUSED_PAD src0_sel:DWORD src1_sel:WORD_1
	v_fma_f16 v95, v95, v77, v96
	;; [unrolled: 2-line block ×4, first 2 shown]
	v_mul_f16_sdwa v100, v101, v80 dst_sel:DWORD dst_unused:UNUSED_PAD src0_sel:DWORD src1_sel:WORD_1
	v_fma_f16 v69, v69, v75, -v105
	v_fma_f16 v70, v70, v76, -v92
	v_fma_f16 v101, v101, v80, v102
	v_fma_f16 v67, v67, v77, -v94
	v_fma_f16 v68, v68, v78, -v96
	;; [unrolled: 1-line block ×4, first 2 shown]
	v_pack_b32_f16 v69, v69, v91
	v_pack_b32_f16 v70, v70, v93
	v_pack_b32_f16 v67, v67, v95
	v_pack_b32_f16 v68, v68, v97
	v_pack_b32_f16 v71, v71, v99
	v_pack_b32_f16 v72, v72, v101
	ds_write2_b32 v85, v69, v70 offset0:16 offset1:160
	ds_write2_b32 v86, v67, v68 offset0:48 offset1:192
	;; [unrolled: 1-line block ×3, first 2 shown]
	s_waitcnt lgkmcnt(3)
	v_lshrrev_b32_e32 v70, 16, v74
	v_lshrrev_b32_e32 v103, 16, v73
	s_waitcnt vmcnt(4)
	v_mul_f16_sdwa v67, v70, v82 dst_sel:DWORD dst_unused:UNUSED_PAD src0_sel:DWORD src1_sel:WORD_1
	v_add_u32_e32 v72, 0x1400, v36
	v_mul_f16_sdwa v104, v73, v81 dst_sel:DWORD dst_unused:UNUSED_PAD src0_sel:DWORD src1_sel:WORD_1
	v_mul_f16_sdwa v102, v103, v81 dst_sel:DWORD dst_unused:UNUSED_PAD src0_sel:DWORD src1_sel:WORD_1
	v_fma_f16 v71, v74, v82, -v67
	ds_read2_b32 v[67:68], v72 offset0:16 offset1:160
	v_fma_f16 v103, v103, v81, v104
	v_fma_f16 v73, v73, v81, -v102
	v_pack_b32_f16 v69, v73, v103
	v_mul_f16_sdwa v73, v74, v82 dst_sel:DWORD dst_unused:UNUSED_PAD src0_sel:DWORD src1_sel:WORD_1
	v_fma_f16 v70, v70, v82, v73
	v_pack_b32_f16 v70, v71, v70
	ds_write2_b32 v88, v69, v70 offset0:48 offset1:192
	s_waitcnt lgkmcnt(1)
	v_lshrrev_b32_e32 v69, 16, v67
	s_waitcnt vmcnt(3)
	v_mul_f16_sdwa v70, v69, v83 dst_sel:DWORD dst_unused:UNUSED_PAD src0_sel:DWORD src1_sel:WORD_1
	v_fma_f16 v70, v67, v83, -v70
	v_mul_f16_sdwa v67, v67, v83 dst_sel:DWORD dst_unused:UNUSED_PAD src0_sel:DWORD src1_sel:WORD_1
	v_lshrrev_b32_e32 v71, 16, v68
	v_fma_f16 v67, v69, v83, v67
	s_waitcnt vmcnt(2)
	v_mul_f16_sdwa v69, v71, v84 dst_sel:DWORD dst_unused:UNUSED_PAD src0_sel:DWORD src1_sel:WORD_1
	v_add_u32_e32 v74, 0x1800, v36
	v_pack_b32_f16 v67, v70, v67
	v_fma_f16 v73, v68, v84, -v69
	ds_read2_b32 v[69:70], v74 offset0:48 offset1:192
	v_mul_f16_sdwa v68, v68, v84 dst_sel:DWORD dst_unused:UNUSED_PAD src0_sel:DWORD src1_sel:WORD_1
	v_fma_f16 v68, v71, v84, v68
	v_pack_b32_f16 v68, v73, v68
	ds_write2_b32 v72, v67, v68 offset0:16 offset1:160
	s_waitcnt lgkmcnt(1)
	v_lshrrev_b32_e32 v67, 16, v69
	s_waitcnt vmcnt(1)
	v_mul_f16_sdwa v68, v67, v89 dst_sel:DWORD dst_unused:UNUSED_PAD src0_sel:DWORD src1_sel:WORD_1
	v_fma_f16 v68, v69, v89, -v68
	v_mul_f16_sdwa v69, v69, v89 dst_sel:DWORD dst_unused:UNUSED_PAD src0_sel:DWORD src1_sel:WORD_1
	v_fma_f16 v67, v67, v89, v69
	v_pack_b32_f16 v67, v68, v67
	v_lshrrev_b32_e32 v68, 16, v70
	s_waitcnt vmcnt(0)
	v_mul_f16_sdwa v69, v68, v90 dst_sel:DWORD dst_unused:UNUSED_PAD src0_sel:DWORD src1_sel:WORD_1
	v_fma_f16 v69, v70, v90, -v69
	v_mul_f16_sdwa v70, v70, v90 dst_sel:DWORD dst_unused:UNUSED_PAD src0_sel:DWORD src1_sel:WORD_1
	v_fma_f16 v68, v68, v90, v70
	v_pack_b32_f16 v68, v69, v68
	ds_write2_b32 v74, v67, v68 offset0:48 offset1:192
.LBB0_9:
	s_or_b64 exec, exec, s[2:3]
	s_waitcnt lgkmcnt(0)
	s_barrier
	s_and_saveexec_b64 s[2:3], s[0:1]
	s_cbranch_execz .LBB0_11
; %bb.10:
	v_add_u32_e32 v24, 0x400, v37
	v_add_u32_e32 v26, 0x800, v37
	;; [unrolled: 1-line block ×5, first 2 shown]
	ds_read2_b32 v[22:23], v37 offset1:144
	ds_read2_b32 v[24:25], v24 offset0:32 offset1:176
	ds_read2_b32 v[26:27], v26 offset0:64 offset1:208
	;; [unrolled: 1-line block ×3, first 2 shown]
	ds_read2_b32 v[30:31], v30 offset1:144
	ds_read2_b32 v[32:33], v32 offset0:32 offset1:176
	ds_read_b32 v40, v37 offset:6912
	s_waitcnt lgkmcnt(6)
	v_lshrrev_b32_e32 v55, 16, v22
	v_lshrrev_b32_e32 v56, 16, v23
	s_waitcnt lgkmcnt(5)
	v_lshrrev_b32_e32 v58, 16, v24
	v_lshrrev_b32_e32 v57, 16, v25
	;; [unrolled: 3-line block ×6, first 2 shown]
	s_waitcnt lgkmcnt(0)
	v_lshrrev_b32_e32 v39, 16, v40
.LBB0_11:
	s_or_b64 exec, exec, s[2:3]
	s_barrier
	s_and_saveexec_b64 s[2:3], s[0:1]
	s_cbranch_execz .LBB0_13
; %bb.12:
	v_sub_f16_e32 v67, v23, v40
	v_mul_f16_e32 v68, 0xba95, v67
	v_add_f16_e32 v69, v39, v56
	s_movk_i32 s4, 0x388b
	v_sub_f16_e32 v71, v24, v33
	v_fma_f16 v70, v69, s4, v68
	v_mul_f16_e32 v72, 0xbb7b, v71
	v_add_f16_e32 v73, v65, v58
	s_mov_b32 s5, 0xb5ac
	v_add_f16_e32 v70, v55, v70
	v_fma_f16 v74, v73, s5, v72
	v_add_f16_e32 v70, v74, v70
	v_sub_f16_e32 v74, v25, v32
	v_mul_f16_e32 v75, 0xb3a8, v74
	v_add_f16_e32 v76, v66, v57
	s_mov_b32 s14, 0xbbc4
	v_fma_f16 v77, v76, s14, v75
	v_add_f16_e32 v70, v77, v70
	v_sub_f16_e32 v77, v26, v31
	v_mul_f16_e32 v78, 0x394e, v77
	v_add_f16_e32 v79, v63, v60
	s_mov_b32 s15, 0xb9fd
	v_fma_f16 v80, v79, s15, v78
	v_add_f16_e32 v70, v80, v70
	v_sub_f16_e32 v80, v27, v30
	v_mul_f16_e32 v81, 0x3bf1, v80
	v_add_f16_e32 v82, v64, v59
	s_movk_i32 s16, 0x2fb7
	v_fma_f16 v83, v82, s16, v81
	v_add_f16_e32 v70, v83, v70
	v_sub_f16_e32 v83, v28, v29
	v_mul_f16_e32 v84, 0x3770, v83
	v_add_f16_e32 v85, v62, v61
	s_movk_i32 s17, 0x3b15
	v_fma_f16 v86, v85, s17, v84
	v_sub_f16_e32 v87, v56, v39
	v_add_f16_e32 v70, v86, v70
	v_add_f16_e32 v86, v40, v23
	v_mul_f16_e32 v88, 0xba95, v87
	v_sub_f16_e32 v91, v58, v65
	v_fma_f16 v89, v86, s4, -v88
	v_add_f16_e32 v90, v33, v24
	v_mul_f16_e32 v92, 0xbb7b, v91
	v_add_f16_e32 v89, v22, v89
	v_fma_f16 v93, v90, s5, -v92
	v_sub_f16_e32 v94, v57, v66
	v_add_f16_e32 v89, v93, v89
	v_add_f16_e32 v93, v32, v25
	v_mul_f16_e32 v95, 0xb3a8, v94
	v_fma_f16 v96, v93, s14, -v95
	v_sub_f16_e32 v97, v60, v63
	v_add_f16_e32 v89, v96, v89
	v_add_f16_e32 v96, v31, v26
	v_mul_f16_e32 v98, 0x394e, v97
	;; [unrolled: 5-line block ×4, first 2 shown]
	v_fma_f16 v105, v102, s17, -v104
	v_add_f16_e32 v89, v105, v89
	v_mul_f16_e32 v105, 0xbbf1, v67
	v_fma_f16 v106, v69, s16, v105
	v_mul_f16_e32 v107, 0xb3a8, v71
	v_add_f16_e32 v106, v55, v106
	v_fma_f16 v108, v73, s14, v107
	v_add_f16_e32 v106, v108, v106
	v_mul_f16_e32 v108, 0x3b7b, v74
	v_fma_f16 v109, v76, s5, v108
	v_add_f16_e32 v106, v109, v106
	v_mul_f16_e32 v109, 0x3770, v77
	;; [unrolled: 3-line block ×5, first 2 shown]
	v_fma_f16 v113, v86, s16, -v112
	v_mul_f16_e32 v114, 0xb3a8, v91
	v_add_f16_e32 v113, v22, v113
	v_fma_f16 v115, v90, s14, -v114
	v_add_f16_e32 v113, v115, v113
	v_mul_f16_e32 v115, 0x3b7b, v94
	v_fma_f16 v116, v93, s5, -v115
	v_add_f16_e32 v113, v116, v113
	v_mul_f16_e32 v116, 0x3770, v97
	;; [unrolled: 3-line block ×5, first 2 shown]
	v_fma_f16 v120, v69, s5, v119
	v_mul_f16_e32 v121, 0x394e, v71
	v_add_f16_e32 v120, v55, v120
	v_fma_f16 v122, v73, s15, v121
	v_add_f16_e32 v120, v122, v120
	v_mul_f16_e32 v122, 0x3770, v74
	v_fma_f16 v123, v76, s17, v122
	v_add_f16_e32 v120, v123, v120
	v_mul_f16_e32 v123, 0xbbf1, v77
	;; [unrolled: 3-line block ×5, first 2 shown]
	v_fma_f16 v127, v86, s5, -v126
	v_mul_f16_e32 v128, 0x394e, v91
	v_add_f16_e32 v127, v22, v127
	v_fma_f16 v129, v90, s15, -v128
	v_add_f16_e32 v127, v129, v127
	v_mul_f16_e32 v129, 0x3770, v94
	v_fma_f16 v130, v93, s17, -v129
	v_add_f16_e32 v127, v130, v127
	v_mul_f16_e32 v130, 0xbbf1, v97
	;; [unrolled: 3-line block ×5, first 2 shown]
	v_fma_f16 v134, v69, s15, v133
	v_mul_f16_e32 v135, 0x3bf1, v71
	v_add_f16_e32 v134, v55, v134
	v_fma_f16 v136, v73, s16, v135
	v_add_f16_e32 v134, v136, v134
	v_mul_f16_e32 v136, 0xba95, v74
	v_fma_f16 v137, v76, s4, v136
	v_add_f16_e32 v134, v137, v134
	v_mul_f16_e32 v137, 0x33a8, v77
	;; [unrolled: 3-line block ×5, first 2 shown]
	v_fma_f16 v141, v86, s15, -v140
	v_mul_f16_e32 v142, 0x3bf1, v91
	v_add_f16_e32 v141, v22, v141
	v_fma_f16 v143, v90, s16, -v142
	v_fma_f16 v68, v69, s4, -v68
	v_add_f16_e32 v141, v143, v141
	v_mul_f16_e32 v143, 0xba95, v94
	v_add_f16_e32 v68, v55, v68
	v_fma_f16 v72, v73, s5, -v72
	v_fma_f16 v144, v93, s4, -v143
	v_add_f16_e32 v68, v72, v68
	v_fma_f16 v72, v76, s14, -v75
	v_add_f16_e32 v141, v144, v141
	v_mul_f16_e32 v144, 0x33a8, v97
	v_add_f16_e32 v68, v72, v68
	v_fma_f16 v72, v79, s15, -v78
	v_fma_f16 v145, v96, s14, -v144
	v_add_f16_e32 v68, v72, v68
	;; [unrolled: 7-line block ×3, first 2 shown]
	v_fma_f16 v72, v86, s4, v88
	v_add_f16_e32 v141, v146, v141
	v_mul_f16_e32 v146, 0xbb7b, v103
	v_add_f16_e32 v72, v22, v72
	v_fma_f16 v75, v90, s5, v92
	v_fma_f16 v147, v102, s5, -v146
	v_add_f16_e32 v72, v75, v72
	v_fma_f16 v75, v93, s14, v95
	v_add_f16_e32 v141, v147, v141
	v_mul_f16_e32 v147, 0xb3a8, v67
	v_add_f16_e32 v72, v75, v72
	v_fma_f16 v75, v96, s15, v98
	v_fma_f16 v148, v69, s14, v147
	v_mul_f16_e32 v149, 0x3770, v71
	v_add_f16_e32 v72, v75, v72
	v_fma_f16 v75, v99, s16, v101
	v_add_f16_e32 v148, v55, v148
	v_fma_f16 v150, v73, s17, v149
	v_fma_f16 v147, v69, s14, -v147
	s_movk_i32 s23, 0x3770
	v_fma_f16 v133, v69, s15, -v133
	v_fma_f16 v119, v69, s5, -v119
	;; [unrolled: 1-line block ×3, first 2 shown]
	v_add_f16_e32 v72, v75, v72
	v_fma_f16 v75, v102, s17, v104
	v_mul_f16_e32 v69, 0x3b15, v69
	v_add_f16_e32 v148, v150, v148
	v_mul_f16_e32 v150, 0xb94e, v74
	v_add_f16_e32 v147, v55, v147
	v_fma_f16 v149, v73, s17, -v149
	s_movk_i32 s28, 0x3a95
	v_add_f16_e32 v133, v55, v133
	v_fma_f16 v135, v73, s16, -v135
	v_add_f16_e32 v119, v55, v119
	v_fma_f16 v121, v73, s15, -v121
	;; [unrolled: 2-line block ×3, first 2 shown]
	v_add_f16_e32 v72, v75, v72
	v_fma_f16 v75, v67, s23, v69
	v_mul_f16_e32 v73, 0x388b, v73
	v_fma_f16 v151, v76, s15, v150
	v_add_f16_e32 v147, v149, v147
	v_fma_f16 v149, v76, s15, -v150
	s_movk_i32 s22, 0x3bf1
	v_add_f16_e32 v133, v135, v133
	v_fma_f16 v135, v76, s4, -v136
	v_add_f16_e32 v119, v121, v119
	v_fma_f16 v121, v76, s17, -v122
	;; [unrolled: 2-line block ×3, first 2 shown]
	v_add_f16_e32 v75, v55, v75
	v_fma_f16 v78, v71, s28, v73
	v_mul_f16_e32 v76, 0x2fb7, v76
	v_add_f16_e32 v75, v78, v75
	v_fma_f16 v78, v74, s22, v76
	v_add_f16_e32 v148, v151, v148
	v_mul_f16_e32 v151, 0x3a95, v77
	s_movk_i32 s25, 0x3b7b
	v_add_f16_e32 v75, v78, v75
	v_mul_f16_e32 v78, 0xb5ac, v79
	v_fma_f16 v152, v79, s4, v151
	v_add_f16_e32 v147, v149, v147
	v_fma_f16 v149, v79, s4, -v151
	v_add_f16_e32 v133, v135, v133
	v_fma_f16 v135, v79, s14, -v137
	;; [unrolled: 2-line block ×4, first 2 shown]
	v_fma_f16 v79, v77, s25, v78
	s_movk_i32 s21, 0x394e
	v_add_f16_e32 v75, v79, v75
	v_mul_f16_e32 v79, 0xb9fd, v82
	v_fma_f16 v81, v80, s21, v79
	v_add_f16_e32 v148, v152, v148
	v_mul_f16_e32 v152, 0xbb7b, v80
	s_movk_i32 s27, 0x33a8
	v_add_f16_e32 v75, v81, v75
	v_mul_f16_e32 v81, 0xbbc4, v85
	v_add_f16_e32 v23, v23, v22
	v_fma_f16 v153, v82, s5, v152
	v_add_f16_e32 v147, v149, v147
	v_fma_f16 v149, v82, s5, -v152
	v_add_f16_e32 v133, v135, v133
	v_fma_f16 v135, v82, s17, -v138
	;; [unrolled: 2-line block ×4, first 2 shown]
	v_fma_f16 v82, v83, s27, v81
	s_mov_b32 s21, 0xb770
	v_add_f16_e32 v23, v24, v23
	v_add_f16_e32 v148, v153, v148
	v_mul_f16_e32 v153, 0x3bf1, v83
	s_mov_b32 s18, 0xba95
	v_add_f16_e32 v75, v82, v75
	v_mul_f16_e32 v82, 0xb770, v87
	v_add_f16_e32 v23, v25, v23
	v_add_f16_e32 v24, v56, v55
	v_fma_f16 v25, v67, s21, v69
	v_fma_f16 v154, v85, s16, v153
	v_add_f16_e32 v147, v149, v147
	s_mov_b32 s24, 0xbbf1
	v_fma_f16 v149, v85, s16, -v153
	v_add_f16_e32 v133, v135, v133
	v_fma_f16 v135, v85, s5, -v139
	v_add_f16_e32 v119, v121, v119
	;; [unrolled: 2-line block ×3, first 2 shown]
	v_fma_f16 v107, v85, s15, -v111
	v_fma_f16 v84, v86, s17, v82
	v_mul_f16_e32 v85, 0xba95, v91
	v_add_f16_e32 v23, v26, v23
	v_add_f16_e32 v24, v58, v24
	;; [unrolled: 1-line block ×3, first 2 shown]
	v_fma_f16 v26, v71, s18, v73
	v_add_f16_e32 v148, v154, v148
	v_mul_f16_e32 v154, 0xb3a8, v87
	s_mov_b32 s19, 0xbb7b
	v_add_f16_e32 v84, v22, v84
	v_fma_f16 v87, v90, s4, v85
	v_add_f16_e32 v24, v57, v24
	v_add_f16_e32 v25, v26, v25
	v_fma_f16 v26, v74, s24, v76
	s_mov_b32 s26, 0xb94e
	v_add_f16_e32 v84, v87, v84
	v_mul_f16_e32 v87, 0xbbf1, v94
	v_add_f16_e32 v24, v60, v24
	v_add_f16_e32 v25, v26, v25
	v_fma_f16 v26, v77, s19, v78
	v_fma_f16 v155, v86, s14, -v154
	v_mul_f16_e32 v156, 0x3770, v91
	s_mov_b32 s20, 0xb3a8
	v_fma_f16 v88, v93, s16, v87
	v_add_f16_e32 v23, v27, v23
	v_add_f16_e32 v24, v59, v24
	;; [unrolled: 1-line block ×3, first 2 shown]
	v_fma_f16 v26, v80, s26, v79
	v_add_f16_e32 v155, v22, v155
	v_fma_f16 v157, v90, s17, -v156
	v_add_f16_e32 v84, v88, v84
	v_mul_f16_e32 v88, 0xbb7b, v97
	v_add_f16_e32 v23, v28, v23
	v_add_f16_e32 v24, v61, v24
	;; [unrolled: 1-line block ×3, first 2 shown]
	v_fma_f16 v26, v83, s20, v81
	v_add_f16_e32 v155, v157, v155
	v_mul_f16_e32 v157, 0xb94e, v94
	v_add_f16_e32 v147, v149, v147
	v_fma_f16 v149, v86, s14, v154
	v_add_f16_e32 v133, v135, v133
	v_fma_f16 v135, v86, s15, v140
	;; [unrolled: 2-line block ×4, first 2 shown]
	v_fma_f16 v91, v96, s5, v88
	v_add_f16_e32 v23, v29, v23
	v_add_f16_e32 v24, v62, v24
	;; [unrolled: 1-line block ×3, first 2 shown]
	v_fma_f16 v26, v86, s17, -v82
	v_fma_f16 v158, v93, s15, -v157
	v_add_f16_e32 v149, v22, v149
	v_add_f16_e32 v135, v22, v135
	;; [unrolled: 1-line block ×4, first 2 shown]
	v_fma_f16 v108, v90, s14, v114
	v_add_f16_e32 v84, v91, v84
	v_mul_f16_e32 v91, 0xb94e, v100
	v_add_f16_e32 v23, v30, v23
	v_add_f16_e32 v24, v64, v24
	;; [unrolled: 1-line block ×3, first 2 shown]
	v_fma_f16 v26, v90, s4, -v85
	v_add_f16_e32 v155, v158, v155
	v_mul_f16_e32 v158, 0x3a95, v97
	v_fma_f16 v136, v90, s16, v142
	v_fma_f16 v122, v90, s15, v128
	v_add_f16_e32 v107, v108, v107
	v_fma_f16 v108, v93, s5, v115
	v_fma_f16 v92, v99, s15, v91
	v_add_f16_e32 v23, v31, v23
	v_add_f16_e32 v24, v63, v24
	;; [unrolled: 1-line block ×3, first 2 shown]
	v_fma_f16 v26, v93, s16, -v87
	v_fma_f16 v159, v96, s4, -v158
	v_fma_f16 v150, v90, s17, v156
	v_add_f16_e32 v135, v136, v135
	v_fma_f16 v136, v93, s4, v143
	v_add_f16_e32 v121, v122, v121
	;; [unrolled: 2-line block ×4, first 2 shown]
	v_mul_f16_e32 v92, 0xb3a8, v103
	v_add_f16_e32 v23, v32, v23
	v_add_f16_e32 v24, v66, v24
	;; [unrolled: 1-line block ×3, first 2 shown]
	v_fma_f16 v26, v96, s5, -v88
	v_add_f16_e32 v155, v159, v155
	v_mul_f16_e32 v159, 0xbb7b, v100
	v_add_f16_e32 v149, v150, v149
	v_fma_f16 v150, v93, s15, v157
	v_add_f16_e32 v135, v136, v135
	v_fma_f16 v136, v96, s14, v144
	;; [unrolled: 2-line block ×4, first 2 shown]
	v_fma_f16 v94, v102, s14, v92
	v_add_f16_e32 v23, v33, v23
	v_add_f16_e32 v24, v65, v24
	;; [unrolled: 1-line block ×3, first 2 shown]
	v_fma_f16 v26, v99, s15, -v91
	v_fma_f16 v160, v99, s5, -v159
	v_add_f16_e32 v149, v150, v149
	v_fma_f16 v150, v96, s4, v158
	v_add_f16_e32 v135, v136, v135
	v_fma_f16 v136, v99, s17, v145
	;; [unrolled: 2-line block ×4, first 2 shown]
	v_add_f16_e32 v84, v94, v84
	v_add_f16_e32 v23, v40, v23
	;; [unrolled: 1-line block ×4, first 2 shown]
	v_fma_f16 v26, v102, s14, -v92
	v_add_f16_e32 v155, v160, v155
	v_mul_f16_e32 v160, 0x3bf1, v103
	v_add_f16_e32 v149, v150, v149
	v_fma_f16 v150, v99, s5, v159
	v_add_f16_e32 v135, v136, v135
	v_fma_f16 v136, v102, s5, v146
	v_add_f16_e32 v121, v122, v121
	v_fma_f16 v122, v102, s4, v132
	v_add_f16_e32 v107, v108, v107
	v_add_f16_e32 v22, v26, v22
	v_lshlrev_b32_e32 v26, 2, v38
	v_pack_b32_f16 v27, v84, v75
	v_pack_b32_f16 v23, v23, v24
	v_fma_f16 v161, v102, s16, -v160
	v_add_f16_e32 v149, v150, v149
	v_fma_f16 v150, v102, s16, v160
	v_add_f16_e32 v135, v136, v135
	v_add_f16_e32 v121, v122, v121
	ds_write2_b32 v26, v23, v27 offset1:1
	v_pack_b32_f16 v23, v107, v105
	v_pack_b32_f16 v24, v72, v68
	v_add_f16_e32 v155, v161, v155
	v_add_f16_e32 v149, v150, v149
	ds_write2_b32 v26, v24, v23 offset0:2 offset1:3
	v_pack_b32_f16 v23, v135, v133
	v_pack_b32_f16 v24, v121, v119
	ds_write2_b32 v26, v24, v23 offset0:4 offset1:5
	v_pack_b32_f16 v23, v155, v148
	v_pack_b32_f16 v24, v149, v147
	;; [unrolled: 3-line block ×4, first 2 shown]
	v_pack_b32_f16 v22, v22, v25
	ds_write2_b32 v26, v24, v23 offset0:10 offset1:11
	ds_write_b32 v26, v22 offset:48
.LBB0_13:
	s_or_b64 exec, exec, s[2:3]
	v_add_u32_e32 v22, 0x900, v37
	s_waitcnt lgkmcnt(0)
	s_barrier
	ds_read2_b32 v[29:30], v22 offset0:48 offset1:204
	v_add_u32_e32 v23, 0x1200, v37
	ds_read2_b32 v[31:32], v23 offset0:96 offset1:252
	v_add_u32_e32 v26, 0xe00, v37
	ds_read2_b32 v[55:56], v26 offset0:40 offset1:196
	s_waitcnt lgkmcnt(2)
	v_lshrrev_b32_e32 v40, 16, v29
	v_mul_f16_sdwa v69, v16, v40 dst_sel:DWORD dst_unused:UNUSED_PAD src0_sel:WORD_1 src1_sel:DWORD
	s_waitcnt lgkmcnt(1)
	v_lshrrev_b32_e32 v59, 16, v31
	v_fma_f16 v69, v16, v29, v69
	v_mul_f16_sdwa v29, v16, v29 dst_sel:DWORD dst_unused:UNUSED_PAD src0_sel:WORD_1 src1_sel:DWORD
	v_add_u32_e32 v25, 0x1800, v37
	v_fma_f16 v16, v16, v40, -v29
	v_mul_f16_sdwa v29, v17, v59 dst_sel:DWORD dst_unused:UNUSED_PAD src0_sel:WORD_1 src1_sel:DWORD
	ds_read2_b32 v[57:58], v25 offset0:24 offset1:180
	v_lshrrev_b32_e32 v61, 16, v30
	v_fma_f16 v29, v17, v31, v29
	v_mul_f16_sdwa v31, v17, v31 dst_sel:DWORD dst_unused:UNUSED_PAD src0_sel:WORD_1 src1_sel:DWORD
	v_fma_f16 v17, v17, v59, -v31
	v_mul_f16_sdwa v31, v14, v61 dst_sel:DWORD dst_unused:UNUSED_PAD src0_sel:WORD_1 src1_sel:DWORD
	v_lshrrev_b32_e32 v62, 16, v32
	v_fma_f16 v31, v14, v30, v31
	v_mul_f16_sdwa v30, v14, v30 dst_sel:DWORD dst_unused:UNUSED_PAD src0_sel:WORD_1 src1_sel:DWORD
	v_fma_f16 v14, v14, v61, -v30
	v_mul_f16_sdwa v30, v15, v62 dst_sel:DWORD dst_unused:UNUSED_PAD src0_sel:WORD_1 src1_sel:DWORD
	s_waitcnt lgkmcnt(1)
	v_lshrrev_b32_e32 v64, 16, v55
	v_fma_f16 v30, v15, v32, v30
	v_mul_f16_sdwa v32, v15, v32 dst_sel:DWORD dst_unused:UNUSED_PAD src0_sel:WORD_1 src1_sel:DWORD
	s_waitcnt lgkmcnt(0)
	v_lshrrev_b32_e32 v65, 16, v57
	v_fma_f16 v15, v15, v62, -v32
	v_mul_f16_sdwa v32, v18, v64 dst_sel:DWORD dst_unused:UNUSED_PAD src0_sel:WORD_1 src1_sel:DWORD
	v_mul_f16_sdwa v40, v18, v55 dst_sel:DWORD dst_unused:UNUSED_PAD src0_sel:WORD_1 src1_sel:DWORD
	ds_read2_b32 v[27:28], v37 offset1:156
	v_lshrrev_b32_e32 v67, 16, v56
	v_fma_f16 v32, v18, v55, v32
	v_fma_f16 v18, v18, v64, -v40
	v_mul_f16_sdwa v40, v19, v65 dst_sel:DWORD dst_unused:UNUSED_PAD src0_sel:WORD_1 src1_sel:DWORD
	v_mul_f16_sdwa v55, v19, v57 dst_sel:DWORD dst_unused:UNUSED_PAD src0_sel:WORD_1 src1_sel:DWORD
	v_fma_f16 v40, v19, v57, v40
	v_fma_f16 v19, v19, v65, -v55
	v_mul_f16_sdwa v55, v20, v67 dst_sel:DWORD dst_unused:UNUSED_PAD src0_sel:WORD_1 src1_sel:DWORD
	v_lshrrev_b32_e32 v68, 16, v58
	v_fma_f16 v55, v20, v56, v55
	v_mul_f16_sdwa v56, v20, v56 dst_sel:DWORD dst_unused:UNUSED_PAD src0_sel:WORD_1 src1_sel:DWORD
	v_fma_f16 v20, v20, v67, -v56
	v_mul_f16_sdwa v56, v21, v68 dst_sel:DWORD dst_unused:UNUSED_PAD src0_sel:WORD_1 src1_sel:DWORD
	v_fma_f16 v56, v21, v58, v56
	v_mul_f16_sdwa v57, v21, v58 dst_sel:DWORD dst_unused:UNUSED_PAD src0_sel:WORD_1 src1_sel:DWORD
	v_add_f16_e32 v58, v69, v29
	s_waitcnt lgkmcnt(0)
	v_lshrrev_b32_e32 v33, 16, v27
	v_add_u32_e32 v24, 0x400, v37
	v_fma_f16 v21, v21, v68, -v57
	v_add_f16_e32 v57, v27, v69
	v_fma_f16 v27, v58, -0.5, v27
	v_sub_f16_e32 v58, v16, v17
	s_mov_b32 s3, 0xbaee
	s_movk_i32 s2, 0x3aee
	ds_read2_b32 v[38:39], v24 offset0:56 offset1:212
	v_fma_f16 v59, v58, s3, v27
	v_fma_f16 v27, v58, s2, v27
	v_add_f16_e32 v58, v33, v16
	v_add_f16_e32 v16, v16, v17
	;; [unrolled: 1-line block ×3, first 2 shown]
	v_fma_f16 v16, v16, -0.5, v33
	v_sub_f16_e32 v17, v69, v29
	v_add_f16_e32 v33, v31, v30
	v_lshrrev_b32_e32 v60, 16, v28
	v_add_f16_e32 v57, v57, v29
	v_fma_f16 v29, v17, s2, v16
	v_fma_f16 v16, v17, s3, v16
	v_add_f16_e32 v17, v28, v31
	v_fma_f16 v28, v33, -0.5, v28
	v_sub_f16_e32 v33, v14, v15
	v_fma_f16 v61, v33, s3, v28
	v_fma_f16 v28, v33, s2, v28
	v_add_f16_e32 v33, v60, v14
	v_add_f16_e32 v14, v14, v15
	;; [unrolled: 1-line block ×3, first 2 shown]
	v_fma_f16 v14, v14, -0.5, v60
	v_sub_f16_e32 v15, v31, v30
	v_add_f16_e32 v31, v32, v40
	s_waitcnt lgkmcnt(0)
	v_lshrrev_b32_e32 v63, 16, v38
	v_add_f16_e32 v17, v17, v30
	v_fma_f16 v30, v15, s2, v14
	v_fma_f16 v14, v15, s3, v14
	v_add_f16_e32 v15, v38, v32
	v_fma_f16 v31, v31, -0.5, v38
	v_sub_f16_e32 v38, v18, v19
	v_fma_f16 v60, v38, s3, v31
	v_fma_f16 v31, v38, s2, v31
	v_add_f16_e32 v38, v63, v18
	v_add_f16_e32 v18, v18, v19
	;; [unrolled: 1-line block ×4, first 2 shown]
	v_fma_f16 v18, v18, -0.5, v63
	v_sub_f16_e32 v19, v32, v40
	v_add_f16_e32 v40, v55, v56
	v_lshrrev_b32_e32 v66, 16, v39
	v_fma_f16 v32, v19, s2, v18
	v_fma_f16 v18, v19, s3, v18
	v_add_f16_e32 v19, v39, v55
	v_fma_f16 v39, v40, -0.5, v39
	v_sub_f16_e32 v40, v20, v21
	v_fma_f16 v62, v40, s3, v39
	v_fma_f16 v39, v40, s2, v39
	v_add_f16_e32 v40, v66, v20
	v_add_f16_e32 v20, v20, v21
	;; [unrolled: 1-line block ×3, first 2 shown]
	v_fma_f16 v20, v20, -0.5, v66
	v_sub_f16_e32 v21, v55, v56
	v_fma_f16 v55, v21, s2, v20
	v_fma_f16 v20, v21, s3, v20
	v_pack_b32_f16 v21, v57, v58
	v_pack_b32_f16 v29, v59, v29
	;; [unrolled: 1-line block ×4, first 2 shown]
	s_barrier
	ds_write2_b32 v41, v21, v29 offset1:13
	ds_write_b32 v41, v16 offset:104
	v_pack_b32_f16 v16, v17, v33
	v_pack_b32_f16 v17, v61, v30
	ds_write_b32 v42, v14 offset:104
	v_pack_b32_f16 v14, v15, v38
	v_pack_b32_f16 v15, v60, v32
	v_add_f16_e32 v19, v19, v56
	ds_write2_b32 v42, v16, v17 offset1:13
	ds_write2_b32 v43, v14, v15 offset1:13
	v_pack_b32_f16 v14, v31, v18
	ds_write_b32 v43, v14 offset:104
	v_pack_b32_f16 v14, v19, v40
	v_pack_b32_f16 v15, v62, v55
	ds_write2_b32 v44, v14, v15 offset1:13
	v_pack_b32_f16 v14, v39, v20
	ds_write_b32 v44, v14 offset:104
	s_waitcnt lgkmcnt(0)
	s_barrier
	ds_read2_b32 v[14:15], v37 offset1:156
	ds_read2_b32 v[16:17], v24 offset0:56 offset1:212
	ds_read2_b32 v[18:19], v26 offset0:40 offset1:196
	;; [unrolled: 1-line block ×5, first 2 shown]
	s_waitcnt lgkmcnt(4)
	v_lshrrev_b32_e32 v32, 16, v17
	v_mul_f16_sdwa v57, v4, v32 dst_sel:DWORD dst_unused:UNUSED_PAD src0_sel:WORD_1 src1_sel:DWORD
	s_waitcnt lgkmcnt(3)
	v_lshrrev_b32_e32 v33, 16, v18
	v_fma_f16 v57, v4, v17, v57
	v_mul_f16_sdwa v17, v4, v17 dst_sel:DWORD dst_unused:UNUSED_PAD src0_sel:WORD_1 src1_sel:DWORD
	v_fma_f16 v4, v4, v32, -v17
	v_mul_f16_sdwa v17, v5, v33 dst_sel:DWORD dst_unused:UNUSED_PAD src0_sel:WORD_1 src1_sel:DWORD
	s_waitcnt lgkmcnt(2)
	v_lshrrev_b32_e32 v38, 16, v21
	v_fma_f16 v17, v5, v18, v17
	v_mul_f16_sdwa v18, v5, v18 dst_sel:DWORD dst_unused:UNUSED_PAD src0_sel:WORD_1 src1_sel:DWORD
	v_fma_f16 v5, v5, v33, -v18
	;; [unrolled: 6-line block ×3, first 2 shown]
	v_mul_f16_sdwa v21, v7, v40 dst_sel:DWORD dst_unused:UNUSED_PAD src0_sel:WORD_1 src1_sel:DWORD
	v_lshrrev_b32_e32 v41, 16, v19
	v_fma_f16 v21, v7, v27, v21
	v_mul_f16_sdwa v27, v7, v27 dst_sel:DWORD dst_unused:UNUSED_PAD src0_sel:WORD_1 src1_sel:DWORD
	v_fma_f16 v7, v7, v40, -v27
	v_mul_f16_sdwa v27, v8, v41 dst_sel:DWORD dst_unused:UNUSED_PAD src0_sel:WORD_1 src1_sel:DWORD
	s_waitcnt lgkmcnt(0)
	v_lshrrev_b32_e32 v42, 16, v29
	v_fma_f16 v27, v8, v19, v27
	v_mul_f16_sdwa v19, v8, v19 dst_sel:DWORD dst_unused:UNUSED_PAD src0_sel:WORD_1 src1_sel:DWORD
	v_fma_f16 v8, v8, v41, -v19
	v_mul_f16_sdwa v19, v9, v42 dst_sel:DWORD dst_unused:UNUSED_PAD src0_sel:WORD_1 src1_sel:DWORD
	v_lshrrev_b32_e32 v44, 16, v28
	v_fma_f16 v19, v9, v29, v19
	v_mul_f16_sdwa v29, v9, v29 dst_sel:DWORD dst_unused:UNUSED_PAD src0_sel:WORD_1 src1_sel:DWORD
	v_fma_f16 v9, v9, v42, -v29
	v_mul_f16_sdwa v29, v10, v44 dst_sel:DWORD dst_unused:UNUSED_PAD src0_sel:WORD_1 src1_sel:DWORD
	;; [unrolled: 5-line block ×3, first 2 shown]
	v_lshrrev_b32_e32 v56, 16, v30
	v_fma_f16 v28, v11, v20, v28
	v_mul_f16_sdwa v20, v11, v20 dst_sel:DWORD dst_unused:UNUSED_PAD src0_sel:WORD_1 src1_sel:DWORD
	v_lshrrev_b32_e32 v31, 16, v14
	v_fma_f16 v11, v11, v55, -v20
	v_mul_f16_sdwa v20, v12, v56 dst_sel:DWORD dst_unused:UNUSED_PAD src0_sel:WORD_1 src1_sel:DWORD
	v_fma_f16 v20, v12, v30, v20
	v_mul_f16_sdwa v30, v12, v30 dst_sel:DWORD dst_unused:UNUSED_PAD src0_sel:WORD_1 src1_sel:DWORD
	v_sub_f16_e32 v17, v14, v17
	v_sub_f16_e32 v5, v31, v5
	;; [unrolled: 1-line block ×4, first 2 shown]
	v_lshrrev_b32_e32 v39, 16, v15
	v_fma_f16 v12, v12, v56, -v30
	v_fma_f16 v14, v14, 2.0, -v17
	v_fma_f16 v30, v31, 2.0, -v5
	;; [unrolled: 1-line block ×4, first 2 shown]
	v_sub_f16_e32 v31, v14, v31
	v_sub_f16_e32 v4, v30, v4
	v_add_f16_e32 v6, v17, v6
	v_sub_f16_e32 v18, v5, v18
	v_sub_f16_e32 v27, v15, v27
	;; [unrolled: 1-line block ×5, first 2 shown]
	v_lshrrev_b32_e32 v43, 16, v16
	v_fma_f16 v14, v14, 2.0, -v31
	v_fma_f16 v30, v30, 2.0, -v4
	;; [unrolled: 1-line block ×8, first 2 shown]
	v_sub_f16_e32 v21, v15, v21
	v_sub_f16_e32 v7, v32, v7
	v_add_f16_e32 v9, v27, v9
	v_sub_f16_e32 v19, v8, v19
	v_sub_f16_e32 v28, v16, v28
	;; [unrolled: 1-line block ×5, first 2 shown]
	v_pack_b32_f16 v14, v14, v30
	v_pack_b32_f16 v5, v17, v5
	v_fma_f16 v15, v15, 2.0, -v21
	v_fma_f16 v32, v32, 2.0, -v7
	v_fma_f16 v27, v27, 2.0, -v9
	v_fma_f16 v8, v8, 2.0, -v19
	v_fma_f16 v16, v16, 2.0, -v28
	v_fma_f16 v33, v43, 2.0, -v11
	v_fma_f16 v29, v29, 2.0, -v20
	v_fma_f16 v10, v10, 2.0, -v12
	s_barrier
	ds_write2_b32 v46, v14, v5 offset1:39
	v_pack_b32_f16 v4, v31, v4
	v_pack_b32_f16 v5, v6, v18
	v_sub_f16_e32 v29, v16, v29
	v_sub_f16_e32 v10, v33, v10
	v_add_f16_e32 v12, v28, v12
	v_sub_f16_e32 v20, v11, v20
	ds_write2_b32 v46, v4, v5 offset0:78 offset1:117
	v_pack_b32_f16 v4, v15, v32
	v_pack_b32_f16 v5, v27, v8
	v_fma_f16 v16, v16, 2.0, -v29
	v_fma_f16 v33, v33, 2.0, -v10
	;; [unrolled: 1-line block ×4, first 2 shown]
	ds_write2_b32 v47, v4, v5 offset1:39
	v_pack_b32_f16 v4, v21, v7
	v_pack_b32_f16 v5, v9, v19
	ds_write2_b32 v47, v4, v5 offset0:78 offset1:117
	v_pack_b32_f16 v4, v16, v33
	v_pack_b32_f16 v5, v28, v11
	ds_write2_b32 v48, v4, v5 offset1:39
	v_pack_b32_f16 v4, v29, v10
	v_pack_b32_f16 v5, v12, v20
	ds_write2_b32 v48, v4, v5 offset0:78 offset1:117
	s_waitcnt lgkmcnt(0)
	s_barrier
	ds_read2_b32 v[4:5], v37 offset1:156
	ds_read2_b32 v[6:7], v24 offset0:56 offset1:212
	ds_read2_b32 v[8:9], v22 offset0:48 offset1:204
	;; [unrolled: 1-line block ×5, first 2 shown]
	s_waitcnt lgkmcnt(4)
	v_lshrrev_b32_e32 v18, 16, v6
	v_mul_f16_sdwa v38, v0, v18 dst_sel:DWORD dst_unused:UNUSED_PAD src0_sel:WORD_1 src1_sel:DWORD
	s_waitcnt lgkmcnt(3)
	v_lshrrev_b32_e32 v19, 16, v8
	v_fma_f16 v38, v0, v6, v38
	v_mul_f16_sdwa v6, v0, v6 dst_sel:DWORD dst_unused:UNUSED_PAD src0_sel:WORD_1 src1_sel:DWORD
	v_fma_f16 v6, v0, v18, -v6
	v_mul_f16_sdwa v18, v1, v19 dst_sel:DWORD dst_unused:UNUSED_PAD src0_sel:WORD_1 src1_sel:DWORD
	s_waitcnt lgkmcnt(2)
	v_lshrrev_b32_e32 v20, 16, v10
	v_fma_f16 v18, v1, v8, v18
	v_mul_f16_sdwa v8, v1, v8 dst_sel:DWORD dst_unused:UNUSED_PAD src0_sel:WORD_1 src1_sel:DWORD
	v_fma_f16 v8, v1, v19, -v8
	;; [unrolled: 6-line block ×4, first 2 shown]
	v_mul_f16_sdwa v21, v45, v27 dst_sel:DWORD dst_unused:UNUSED_PAD src0_sel:WORD_1 src1_sel:DWORD
	v_lshrrev_b32_e32 v29, 16, v7
	v_fma_f16 v21, v45, v16, v21
	v_mul_f16_sdwa v16, v45, v16 dst_sel:DWORD dst_unused:UNUSED_PAD src0_sel:WORD_1 src1_sel:DWORD
	v_fma_f16 v16, v45, v27, -v16
	v_mul_f16_sdwa v27, v0, v29 dst_sel:DWORD dst_unused:UNUSED_PAD src0_sel:WORD_1 src1_sel:DWORD
	v_lshrrev_b32_e32 v30, 16, v9
	v_fma_f16 v27, v0, v7, v27
	v_mul_f16_sdwa v7, v0, v7 dst_sel:DWORD dst_unused:UNUSED_PAD src0_sel:WORD_1 src1_sel:DWORD
	v_fma_f16 v0, v0, v29, -v7
	;; [unrolled: 5-line block ×3, first 2 shown]
	v_mul_f16_sdwa v9, v2, v31 dst_sel:DWORD dst_unused:UNUSED_PAD src0_sel:WORD_1 src1_sel:DWORD
	v_add_f16_e32 v30, v18, v20
	v_lshrrev_b32_e32 v12, 16, v4
	v_fma_f16 v9, v2, v11, v9
	v_mul_f16_sdwa v11, v2, v11 dst_sel:DWORD dst_unused:UNUSED_PAD src0_sel:WORD_1 src1_sel:DWORD
	v_add_f16_e32 v29, v4, v18
	v_fma_f16 v4, v30, -0.5, v4
	v_sub_f16_e32 v30, v8, v14
	v_lshrrev_b32_e32 v32, 16, v15
	v_fma_f16 v2, v2, v31, -v11
	v_fma_f16 v31, v30, s3, v4
	v_fma_f16 v4, v30, s2, v4
	v_add_f16_e32 v30, v12, v8
	v_add_f16_e32 v8, v8, v14
	v_mul_f16_sdwa v11, v3, v32 dst_sel:DWORD dst_unused:UNUSED_PAD src0_sel:WORD_1 src1_sel:DWORD
	v_fma_f16 v8, v8, -0.5, v12
	v_sub_f16_e32 v12, v18, v20
	v_add_f16_e32 v18, v19, v21
	v_fma_f16 v11, v3, v15, v11
	v_mul_f16_sdwa v15, v3, v15 dst_sel:DWORD dst_unused:UNUSED_PAD src0_sel:WORD_1 src1_sel:DWORD
	v_add_f16_e32 v29, v29, v20
	v_fma_f16 v18, v18, -0.5, v38
	v_sub_f16_e32 v20, v10, v16
	v_fma_f16 v3, v3, v32, -v15
	v_fma_f16 v32, v20, s3, v18
	v_fma_f16 v18, v20, s2, v18
	v_add_f16_e32 v20, v6, v10
	v_add_f16_e32 v10, v10, v16
	v_lshrrev_b32_e32 v33, 16, v17
	v_fma_f16 v6, v10, -0.5, v6
	v_sub_f16_e32 v10, v19, v21
	v_mul_f16_sdwa v15, v45, v33 dst_sel:DWORD dst_unused:UNUSED_PAD src0_sel:WORD_1 src1_sel:DWORD
	v_add_f16_e32 v20, v20, v16
	v_fma_f16 v16, v10, s2, v6
	v_fma_f16 v15, v45, v17, v15
	v_mul_f16_sdwa v17, v45, v17 dst_sel:DWORD dst_unused:UNUSED_PAD src0_sel:WORD_1 src1_sel:DWORD
	v_add_f16_e32 v30, v30, v14
	v_fma_f16 v14, v12, s2, v8
	v_fma_f16 v8, v12, s3, v8
	v_add_f16_e32 v12, v38, v19
	v_fma_f16 v6, v10, s3, v6
	v_mul_f16_e32 v19, 0xbaee, v16
	v_mul_f16_e32 v16, 0.5, v16
	v_fma_f16 v17, v45, v33, -v17
	v_mul_f16_e32 v33, 0xbaee, v6
	v_fma_f16 v16, v32, s2, v16
	v_mul_f16_e32 v6, -0.5, v6
	v_fma_f16 v19, v32, 0.5, v19
	v_add_f16_e32 v32, v14, v16
	v_fma_f16 v6, v18, s2, v6
	v_sub_f16_e32 v14, v14, v16
	v_add_f16_e32 v16, v7, v11
	v_lshrrev_b32_e32 v28, 16, v5
	v_add_f16_e32 v12, v12, v21
	v_fma_f16 v33, v18, -0.5, v33
	v_add_f16_e32 v18, v8, v6
	v_sub_f16_e32 v6, v8, v6
	v_add_f16_e32 v8, v5, v7
	v_fma_f16 v5, v16, -0.5, v5
	v_sub_f16_e32 v16, v1, v3
	v_add_f16_e32 v10, v29, v12
	v_sub_f16_e32 v12, v29, v12
	v_fma_f16 v29, v16, s3, v5
	v_fma_f16 v5, v16, s2, v5
	v_add_f16_e32 v16, v28, v1
	v_add_f16_e32 v1, v1, v3
	;; [unrolled: 1-line block ×4, first 2 shown]
	v_fma_f16 v1, v1, -0.5, v28
	v_sub_f16_e32 v3, v7, v11
	v_add_f16_e32 v11, v9, v15
	v_fma_f16 v7, v3, s2, v1
	v_fma_f16 v1, v3, s3, v1
	v_add_f16_e32 v3, v27, v9
	v_fma_f16 v11, v11, -0.5, v27
	v_sub_f16_e32 v27, v2, v17
	v_fma_f16 v28, v27, s3, v11
	v_fma_f16 v11, v27, s2, v11
	v_add_f16_e32 v27, v0, v2
	v_add_f16_e32 v2, v2, v17
	v_fma_f16 v0, v2, -0.5, v0
	v_sub_f16_e32 v2, v9, v15
	v_fma_f16 v9, v2, s2, v0
	v_fma_f16 v0, v2, s3, v0
	v_add_f16_e32 v39, v30, v20
	v_sub_f16_e32 v20, v30, v20
	v_add_f16_e32 v3, v3, v15
	v_mul_f16_e32 v15, 0xbaee, v9
	v_mul_f16_e32 v30, 0xbaee, v0
	v_mul_f16_e32 v9, 0.5, v9
	v_mul_f16_e32 v0, -0.5, v0
	v_add_f16_e32 v21, v31, v19
	v_fma_f16 v9, v28, s2, v9
	v_fma_f16 v0, v11, s2, v0
	v_add_f16_e32 v38, v4, v33
	v_fma_f16 v15, v28, 0.5, v15
	v_fma_f16 v30, v11, -0.5, v30
	v_add_f16_e32 v28, v7, v9
	v_add_f16_e32 v11, v1, v0
	v_sub_f16_e32 v7, v7, v9
	v_sub_f16_e32 v0, v1, v0
	v_pack_b32_f16 v1, v10, v39
	v_pack_b32_f16 v9, v21, v32
	v_sub_f16_e32 v19, v31, v19
	v_sub_f16_e32 v4, v4, v33
	v_add_f16_e32 v27, v27, v17
	s_barrier
	ds_write2_b32 v37, v1, v9 offset1:156
	v_pack_b32_f16 v1, v38, v18
	v_pack_b32_f16 v9, v12, v20
	v_add_f16_e32 v2, v8, v3
	v_add_f16_e32 v17, v29, v15
	;; [unrolled: 1-line block ×3, first 2 shown]
	ds_write2_b32 v24, v1, v9 offset0:56 offset1:212
	v_pack_b32_f16 v1, v19, v14
	v_pack_b32_f16 v4, v4, v6
	v_add_f16_e32 v31, v5, v30
	v_sub_f16_e32 v3, v8, v3
	v_sub_f16_e32 v8, v29, v15
	;; [unrolled: 1-line block ×3, first 2 shown]
	ds_write2_b32 v22, v1, v4 offset0:48 offset1:204
	v_pack_b32_f16 v1, v2, v33
	v_pack_b32_f16 v2, v17, v28
	v_sub_f16_e32 v5, v5, v30
	ds_write2_b32 v26, v1, v2 offset0:40 offset1:196
	v_pack_b32_f16 v1, v31, v11
	v_pack_b32_f16 v2, v3, v15
	ds_write2_b32 v23, v1, v2 offset0:96 offset1:252
	v_pack_b32_f16 v1, v8, v7
	v_pack_b32_f16 v0, v5, v0
	ds_write2_b32 v25, v1, v0 offset0:24 offset1:180
	s_waitcnt lgkmcnt(0)
	s_barrier
	ds_read2_b32 v[0:1], v37 offset1:156
	ds_read2_b32 v[2:3], v26 offset0:40 offset1:196
	ds_read2_b32 v[6:7], v23 offset0:96 offset1:252
	ds_read2_b32 v[4:5], v24 offset0:56 offset1:212
	ds_read2_b32 v[8:9], v22 offset0:48 offset1:204
	ds_read2_b32 v[10:11], v25 offset0:24 offset1:180
	s_waitcnt lgkmcnt(5)
	v_lshrrev_b32_e32 v12, 16, v0
	s_waitcnt lgkmcnt(4)
	v_lshrrev_b32_e32 v14, 16, v2
	v_mul_f16_sdwa v30, v49, v14 dst_sel:DWORD dst_unused:UNUSED_PAD src0_sel:WORD_1 src1_sel:DWORD
	v_lshrrev_b32_e32 v16, 16, v3
	v_fma_f16 v30, v49, v2, v30
	v_mul_f16_sdwa v2, v49, v2 dst_sel:DWORD dst_unused:UNUSED_PAD src0_sel:WORD_1 src1_sel:DWORD
	v_fma_f16 v2, v49, v14, -v2
	v_mul_f16_sdwa v14, v50, v16 dst_sel:DWORD dst_unused:UNUSED_PAD src0_sel:WORD_1 src1_sel:DWORD
	s_waitcnt lgkmcnt(3)
	v_lshrrev_b32_e32 v18, 16, v6
	v_fma_f16 v14, v50, v3, v14
	v_mul_f16_sdwa v3, v50, v3 dst_sel:DWORD dst_unused:UNUSED_PAD src0_sel:WORD_1 src1_sel:DWORD
	v_fma_f16 v3, v50, v16, -v3
	v_mul_f16_sdwa v16, v51, v18 dst_sel:DWORD dst_unused:UNUSED_PAD src0_sel:WORD_1 src1_sel:DWORD
	v_lshrrev_b32_e32 v20, 16, v7
	v_fma_f16 v16, v51, v6, v16
	v_mul_f16_sdwa v6, v51, v6 dst_sel:DWORD dst_unused:UNUSED_PAD src0_sel:WORD_1 src1_sel:DWORD
	v_fma_f16 v6, v51, v18, -v6
	v_mul_f16_sdwa v18, v52, v20 dst_sel:DWORD dst_unused:UNUSED_PAD src0_sel:WORD_1 src1_sel:DWORD
	s_waitcnt lgkmcnt(0)
	v_lshrrev_b32_e32 v27, 16, v10
	v_fma_f16 v18, v52, v7, v18
	v_mul_f16_sdwa v7, v52, v7 dst_sel:DWORD dst_unused:UNUSED_PAD src0_sel:WORD_1 src1_sel:DWORD
	v_fma_f16 v7, v52, v20, -v7
	v_mul_f16_sdwa v20, v53, v27 dst_sel:DWORD dst_unused:UNUSED_PAD src0_sel:WORD_1 src1_sel:DWORD
	v_lshrrev_b32_e32 v29, 16, v11
	v_fma_f16 v20, v53, v10, v20
	v_mul_f16_sdwa v10, v53, v10 dst_sel:DWORD dst_unused:UNUSED_PAD src0_sel:WORD_1 src1_sel:DWORD
	v_fma_f16 v10, v53, v27, -v10
	v_mul_f16_sdwa v27, v54, v29 dst_sel:DWORD dst_unused:UNUSED_PAD src0_sel:WORD_1 src1_sel:DWORD
	v_lshrrev_b32_e32 v15, 16, v1
	v_fma_f16 v27, v54, v11, v27
	v_mul_f16_sdwa v11, v54, v11 dst_sel:DWORD dst_unused:UNUSED_PAD src0_sel:WORD_1 src1_sel:DWORD
	v_fma_f16 v11, v54, v29, -v11
	v_sub_f16_e32 v29, v0, v30
	v_sub_f16_e32 v2, v12, v2
	;; [unrolled: 1-line block ×4, first 2 shown]
	v_lshrrev_b32_e32 v17, 16, v4
	v_lshrrev_b32_e32 v19, 16, v5
	v_fma_f16 v0, v0, 2.0, -v29
	v_fma_f16 v12, v12, 2.0, -v2
	;; [unrolled: 1-line block ×4, first 2 shown]
	v_sub_f16_e32 v16, v4, v16
	v_sub_f16_e32 v6, v17, v6
	;; [unrolled: 1-line block ×4, first 2 shown]
	v_pack_b32_f16 v0, v0, v12
	v_pack_b32_f16 v1, v1, v15
	v_lshrrev_b32_e32 v21, 16, v8
	v_lshrrev_b32_e32 v28, 16, v9
	v_fma_f16 v4, v4, 2.0, -v16
	v_fma_f16 v17, v17, 2.0, -v6
	;; [unrolled: 1-line block ×4, first 2 shown]
	v_pack_b32_f16 v2, v29, v2
	ds_write2_b32 v37, v0, v1 offset1:156
	v_pack_b32_f16 v0, v14, v3
	v_sub_f16_e32 v20, v8, v20
	v_sub_f16_e32 v10, v21, v10
	;; [unrolled: 1-line block ×4, first 2 shown]
	ds_write2_b32 v26, v2, v0 offset0:40 offset1:196
	v_pack_b32_f16 v0, v4, v17
	v_pack_b32_f16 v2, v5, v19
	v_fma_f16 v8, v8, 2.0, -v20
	v_fma_f16 v21, v21, 2.0, -v10
	;; [unrolled: 1-line block ×4, first 2 shown]
	v_pack_b32_f16 v1, v16, v6
	ds_write2_b32 v24, v0, v2 offset0:56 offset1:212
	v_pack_b32_f16 v0, v18, v7
	ds_write2_b32 v23, v1, v0 offset0:96 offset1:252
	v_pack_b32_f16 v0, v8, v21
	v_pack_b32_f16 v2, v9, v28
	;; [unrolled: 1-line block ×3, first 2 shown]
	ds_write2_b32 v22, v0, v2 offset0:48 offset1:204
	v_pack_b32_f16 v0, v27, v11
	ds_write2_b32 v25, v1, v0 offset0:24 offset1:180
	s_waitcnt lgkmcnt(0)
	s_barrier
	s_and_b64 exec, exec, s[0:1]
	s_cbranch_execz .LBB0_15
; %bb.14:
	global_load_dword v7, v34, s[6:7]
	ds_read_b32 v8, v37
	global_load_dword v5, v34, s[6:7] offset:576
	global_load_dword v6, v34, s[6:7] offset:1152
	;; [unrolled: 1-line block ×3, first 2 shown]
	s_mov_b32 s14, 0x11811812
	s_mov_b32 s15, 0x3f418118
	v_mad_u64_u32 v[2:3], s[0:1], s10, v13, 0
	s_waitcnt lgkmcnt(0)
	v_lshrrev_b32_e32 v15, 16, v8
	v_mov_b32_e32 v0, s7
	v_add_co_u32_e32 v1, vcc, s6, v34
	s_movk_i32 s0, 0x1000
	v_mov_b32_e32 v4, 0x7c00
	v_addc_co_u32_e32 v10, vcc, 0, v0, vcc
	v_add_co_u32_e32 v0, vcc, s0, v1
	v_mad_u64_u32 v[19:20], s[0:1], s11, v13, v[3:4]
	s_movk_i32 s10, 0x1ff
	v_addc_co_u32_e32 v1, vcc, 0, v10, vcc
	v_add_u32_e32 v3, 0x200, v36
	s_movk_i32 s16, 0xffe
	global_load_dword v11, v[0:1], off offset:512
	global_load_dword v12, v[0:1], off offset:1088
	;; [unrolled: 1-line block ×4, first 2 shown]
	ds_read2_b32 v[20:21], v3 offset0:16 offset1:160
	v_mov_b32_e32 v3, v19
	s_movk_i32 s17, 0x40f
	s_mov_b32 s18, 0x8000
	v_lshlrev_b64 v[2:3], 2, v[2:3]
	s_waitcnt vmcnt(7)
	v_mul_f16_sdwa v16, v15, v7 dst_sel:DWORD dst_unused:UNUSED_PAD src0_sel:DWORD src1_sel:WORD_1
	v_fma_f16 v16, v8, v7, v16
	v_mul_f16_sdwa v8, v8, v7 dst_sel:DWORD dst_unused:UNUSED_PAD src0_sel:DWORD src1_sel:WORD_1
	v_cvt_f32_f16_e32 v16, v16
	v_fma_f16 v7, v7, v15, -v8
	v_cvt_f32_f16_e32 v17, v7
	v_cvt_f64_f32_e32 v[7:8], v16
	v_mad_u64_u32 v[15:16], s[0:1], s8, v35, 0
	v_cvt_f64_f32_e32 v[17:18], v17
	v_mul_f64 v[7:8], v[7:8], s[14:15]
	v_mul_f64 v[17:18], v[17:18], s[14:15]
	v_and_or_b32 v7, v8, s10, v7
	v_cmp_ne_u32_e32 vcc, 0, v7
	v_lshrrev_b32_e32 v13, 8, v8
	v_and_or_b32 v17, v18, s10, v17
	v_bfe_u32 v19, v8, 20, 11
	v_cndmask_b32_e64 v7, 0, 1, vcc
	v_cmp_ne_u32_e32 vcc, 0, v17
	v_lshrrev_b32_e32 v22, 8, v18
	v_bfe_u32 v23, v18, 20, 11
	v_sub_u32_e32 v24, 0x3f1, v19
	v_cndmask_b32_e64 v17, 0, 1, vcc
	v_and_or_b32 v7, v13, s16, v7
	v_sub_u32_e32 v25, 0x3f1, v23
	v_med3_i32 v13, v24, 0, 13
	v_and_or_b32 v17, v22, s16, v17
	v_or_b32_e32 v24, 0x1000, v7
	v_add_u32_e32 v19, 0xfffffc10, v19
	v_med3_i32 v22, v25, 0, 13
	v_cmp_ne_u32_e32 vcc, 0, v7
	v_or_b32_e32 v26, 0x1000, v17
	v_lshrrev_b32_e32 v28, v13, v24
	v_add_u32_e32 v23, 0xfffffc10, v23
	v_lshl_or_b32 v25, v19, 12, v7
	v_cndmask_b32_e64 v7, 0, 1, vcc
	v_cmp_ne_u32_e32 vcc, 0, v17
	v_lshrrev_b32_e32 v29, v22, v26
	v_lshlrev_b32_e32 v13, v13, v28
	v_lshl_or_b32 v27, v23, 12, v17
	v_cndmask_b32_e64 v17, 0, 1, vcc
	v_lshlrev_b32_e32 v22, v22, v29
	v_cmp_ne_u32_e32 vcc, v13, v24
	v_cndmask_b32_e64 v13, 0, 1, vcc
	v_cmp_ne_u32_e32 vcc, v22, v26
	v_cndmask_b32_e64 v22, 0, 1, vcc
	v_or_b32_e32 v13, v28, v13
	v_cmp_gt_i32_e32 vcc, 1, v19
	v_cndmask_b32_e32 v13, v25, v13, vcc
	v_or_b32_e32 v22, v29, v22
	v_cmp_gt_i32_e32 vcc, 1, v23
	v_and_b32_e32 v24, 7, v13
	v_cndmask_b32_e32 v22, v27, v22, vcc
	v_cmp_lt_i32_e32 vcc, 5, v24
	v_cmp_eq_u32_e64 s[0:1], 3, v24
	v_lshrrev_b32_e32 v13, 2, v13
	v_and_b32_e32 v25, 7, v22
	s_or_b64 vcc, s[0:1], vcc
	v_cmp_lt_i32_e64 s[2:3], 5, v25
	v_cmp_eq_u32_e64 s[4:5], 3, v25
	v_addc_co_u32_e32 v13, vcc, 0, v13, vcc
	v_lshrrev_b32_e32 v22, 2, v22
	s_or_b64 vcc, s[4:5], s[2:3]
	v_addc_co_u32_e32 v22, vcc, 0, v22, vcc
	v_cmp_gt_i32_e32 vcc, 31, v19
	v_cndmask_b32_e32 v13, v4, v13, vcc
	v_cmp_gt_i32_e32 vcc, 31, v23
	v_lshl_or_b32 v7, v7, 9, v4
	v_cndmask_b32_e32 v22, v4, v22, vcc
	v_cmp_eq_u32_e32 vcc, s17, v19
	v_lshrrev_b32_e32 v8, 16, v8
	v_lshl_or_b32 v17, v17, 9, v4
	v_cndmask_b32_e32 v7, v13, v7, vcc
	v_cmp_eq_u32_e32 vcc, s17, v23
	v_cndmask_b32_e32 v13, v22, v17, vcc
	v_and_or_b32 v17, v8, s18, v7
	v_mov_b32_e32 v7, v16
	v_mad_u64_u32 v[7:8], s[0:1], s9, v35, v[7:8]
	s_waitcnt lgkmcnt(0)
	v_lshrrev_b32_e32 v19, 16, v20
	s_waitcnt vmcnt(6)
	v_mul_f16_sdwa v8, v19, v5 dst_sel:DWORD dst_unused:UNUSED_PAD src0_sel:DWORD src1_sel:WORD_1
	v_fma_f16 v8, v20, v5, v8
	v_cvt_f32_f16_e32 v8, v8
	v_mov_b32_e32 v16, v7
	v_lshrrev_b32_e32 v18, 16, v18
	v_and_or_b32 v13, v18, s18, v13
	v_cvt_f64_f32_e32 v[7:8], v8
	v_and_b32_e32 v17, 0xffff, v17
	v_lshl_or_b32 v13, v13, 16, v17
	v_mov_b32_e32 v17, s13
	v_mul_f64 v[7:8], v[7:8], s[14:15]
	v_add_co_u32_e32 v18, vcc, s12, v2
	v_addc_co_u32_e32 v17, vcc, v17, v3, vcc
	v_lshlrev_b64 v[2:3], 2, v[15:16]
	s_mul_hi_u32 s2, s8, 0x240
	v_add_co_u32_e32 v2, vcc, v18, v2
	v_addc_co_u32_e32 v3, vcc, v17, v3, vcc
	v_and_or_b32 v7, v8, s10, v7
	v_cmp_ne_u32_e32 vcc, 0, v7
	global_store_dword v[2:3], v13, off
	v_cndmask_b32_e64 v7, 0, 1, vcc
	v_lshrrev_b32_e32 v13, 8, v8
	v_bfe_u32 v15, v8, 20, 11
	v_and_or_b32 v7, v13, s16, v7
	v_sub_u32_e32 v16, 0x3f1, v15
	v_or_b32_e32 v13, 0x1000, v7
	v_med3_i32 v16, v16, 0, 13
	v_lshrrev_b32_e32 v17, v16, v13
	v_lshlrev_b32_e32 v16, v16, v17
	v_cmp_ne_u32_e32 vcc, v16, v13
	v_mul_f16_sdwa v16, v20, v5 dst_sel:DWORD dst_unused:UNUSED_PAD src0_sel:DWORD src1_sel:WORD_1
	v_cndmask_b32_e64 v13, 0, 1, vcc
	v_fma_f16 v5, v5, v19, -v16
	v_or_b32_e32 v13, v17, v13
	v_add_u32_e32 v17, 0xfffffc10, v15
	v_cvt_f32_f16_e32 v5, v5
	v_lshl_or_b32 v15, v17, 12, v7
	v_cmp_gt_i32_e32 vcc, 1, v17
	v_cndmask_b32_e32 v13, v15, v13, vcc
	v_and_b32_e32 v15, 7, v13
	v_cmp_lt_i32_e32 vcc, 5, v15
	v_cmp_eq_u32_e64 s[0:1], 3, v15
	v_cvt_f64_f32_e32 v[15:16], v5
	v_lshrrev_b32_e32 v13, 2, v13
	s_or_b64 vcc, s[0:1], vcc
	v_addc_co_u32_e32 v5, vcc, 0, v13, vcc
	v_mul_f64 v[15:16], v[15:16], s[14:15]
	v_cmp_gt_i32_e32 vcc, 31, v17
	v_cndmask_b32_e32 v5, v4, v5, vcc
	v_cmp_ne_u32_e32 vcc, 0, v7
	v_cndmask_b32_e64 v7, 0, 1, vcc
	v_lshl_or_b32 v7, v7, 9, v4
	v_cmp_eq_u32_e32 vcc, s17, v17
	v_cndmask_b32_e32 v5, v5, v7, vcc
	v_lshrrev_b32_e32 v7, 16, v8
	v_and_or_b32 v5, v7, s18, v5
	v_and_or_b32 v7, v16, s10, v15
	v_cmp_ne_u32_e32 vcc, 0, v7
	v_cndmask_b32_e64 v7, 0, 1, vcc
	v_lshrrev_b32_e32 v8, 8, v16
	v_bfe_u32 v13, v16, 20, 11
	v_and_or_b32 v7, v8, s16, v7
	v_sub_u32_e32 v15, 0x3f1, v13
	v_or_b32_e32 v8, 0x1000, v7
	v_med3_i32 v15, v15, 0, 13
	v_lshrrev_b32_e32 v17, v15, v8
	v_lshlrev_b32_e32 v15, v15, v17
	v_cmp_ne_u32_e32 vcc, v15, v8
	v_cndmask_b32_e64 v8, 0, 1, vcc
	v_add_u32_e32 v13, 0xfffffc10, v13
	v_or_b32_e32 v8, v17, v8
	v_lshl_or_b32 v15, v13, 12, v7
	v_cmp_gt_i32_e32 vcc, 1, v13
	v_cndmask_b32_e32 v8, v15, v8, vcc
	v_and_b32_e32 v15, 7, v8
	v_cmp_lt_i32_e32 vcc, 5, v15
	v_cmp_eq_u32_e64 s[0:1], 3, v15
	v_lshrrev_b32_e32 v8, 2, v8
	s_or_b64 vcc, s[0:1], vcc
	v_addc_co_u32_e32 v8, vcc, 0, v8, vcc
	v_cmp_gt_i32_e32 vcc, 31, v13
	v_cndmask_b32_e32 v8, v4, v8, vcc
	v_cmp_ne_u32_e32 vcc, 0, v7
	v_cndmask_b32_e64 v7, 0, 1, vcc
	v_cmp_eq_u32_e32 vcc, s17, v13
	v_lshrrev_b32_e32 v13, 16, v21
	s_waitcnt vmcnt(6)
	v_mul_f16_sdwa v15, v13, v6 dst_sel:DWORD dst_unused:UNUSED_PAD src0_sel:DWORD src1_sel:WORD_1
	v_fma_f16 v15, v21, v6, v15
	v_cvt_f32_f16_e32 v15, v15
	v_lshl_or_b32 v7, v7, 9, v4
	v_cndmask_b32_e32 v7, v8, v7, vcc
	v_lshrrev_b32_e32 v8, 16, v16
	v_and_or_b32 v7, v8, s18, v7
	v_and_b32_e32 v5, 0xffff, v5
	v_lshl_or_b32 v5, v7, 16, v5
	v_cvt_f64_f32_e32 v[7:8], v15
	s_mul_i32 s0, s9, 0x240
	s_add_i32 s2, s2, s0
	s_mul_i32 s3, s8, 0x240
	v_mul_f64 v[7:8], v[7:8], s[14:15]
	v_mov_b32_e32 v15, s2
	v_add_co_u32_e32 v2, vcc, s3, v2
	v_addc_co_u32_e32 v3, vcc, v3, v15, vcc
	global_store_dword v[2:3], v5, off
	global_load_dword v19, v34, s[6:7] offset:2304
	v_and_or_b32 v5, v8, s10, v7
	v_cmp_ne_u32_e32 vcc, 0, v5
	v_cndmask_b32_e64 v5, 0, 1, vcc
	v_lshrrev_b32_e32 v7, 8, v8
	v_bfe_u32 v15, v8, 20, 11
	v_and_or_b32 v7, v7, s16, v5
	v_sub_u32_e32 v16, 0x3f1, v15
	v_or_b32_e32 v5, 0x1000, v7
	v_med3_i32 v16, v16, 0, 13
	v_lshrrev_b32_e32 v17, v16, v5
	v_lshlrev_b32_e32 v16, v16, v17
	v_cmp_ne_u32_e32 vcc, v16, v5
	v_cndmask_b32_e64 v5, 0, 1, vcc
	v_or_b32_e32 v5, v17, v5
	v_mul_f16_sdwa v17, v21, v6 dst_sel:DWORD dst_unused:UNUSED_PAD src0_sel:DWORD src1_sel:WORD_1
	v_fma_f16 v6, v6, v13, -v17
	v_cvt_f32_f16_e32 v6, v6
	v_add_u32_e32 v15, 0xfffffc10, v15
	v_lshl_or_b32 v16, v15, 12, v7
	v_cmp_gt_i32_e32 vcc, 1, v15
	v_cndmask_b32_e32 v5, v16, v5, vcc
	v_and_b32_e32 v16, 7, v5
	v_lshrrev_b32_e32 v13, 2, v5
	v_cvt_f64_f32_e32 v[5:6], v6
	v_cmp_lt_i32_e32 vcc, 5, v16
	v_cmp_eq_u32_e64 s[0:1], 3, v16
	s_or_b64 vcc, s[0:1], vcc
	v_mul_f64 v[5:6], v[5:6], s[14:15]
	v_addc_co_u32_e32 v13, vcc, 0, v13, vcc
	v_cmp_gt_i32_e32 vcc, 31, v15
	v_cndmask_b32_e32 v13, v4, v13, vcc
	v_cmp_ne_u32_e32 vcc, 0, v7
	v_cndmask_b32_e64 v7, 0, 1, vcc
	v_lshl_or_b32 v7, v7, 9, v4
	v_cmp_eq_u32_e32 vcc, s17, v15
	v_and_or_b32 v5, v6, s10, v5
	v_cndmask_b32_e32 v7, v13, v7, vcc
	v_lshrrev_b32_e32 v8, 16, v8
	v_cmp_ne_u32_e32 vcc, 0, v5
	v_and_or_b32 v13, v8, s18, v7
	v_cndmask_b32_e64 v5, 0, 1, vcc
	v_lshrrev_b32_e32 v7, 8, v6
	v_bfe_u32 v8, v6, 20, 11
	v_and_or_b32 v5, v7, s16, v5
	v_sub_u32_e32 v15, 0x3f1, v8
	v_or_b32_e32 v7, 0x1000, v5
	v_med3_i32 v15, v15, 0, 13
	v_lshrrev_b32_e32 v16, v15, v7
	v_lshlrev_b32_e32 v15, v15, v16
	v_cmp_ne_u32_e32 vcc, v15, v7
	v_cndmask_b32_e64 v7, 0, 1, vcc
	v_add_u32_e32 v15, 0xfffffc10, v8
	v_or_b32_e32 v7, v16, v7
	v_lshl_or_b32 v8, v15, 12, v5
	v_cmp_gt_i32_e32 vcc, 1, v15
	v_cndmask_b32_e32 v7, v8, v7, vcc
	v_and_b32_e32 v8, 7, v7
	v_cmp_lt_i32_e32 vcc, 5, v8
	v_cmp_eq_u32_e64 s[0:1], 3, v8
	v_lshrrev_b32_e32 v7, 2, v7
	s_or_b64 vcc, s[0:1], vcc
	v_addc_co_u32_e32 v16, vcc, 0, v7, vcc
	v_add_u32_e32 v7, 0x600, v36
	ds_read2_b32 v[7:8], v7 offset0:48 offset1:192
	v_cmp_gt_i32_e32 vcc, 31, v15
	v_cndmask_b32_e32 v16, v4, v16, vcc
	v_cmp_ne_u32_e32 vcc, 0, v5
	v_cndmask_b32_e64 v5, 0, 1, vcc
	s_waitcnt lgkmcnt(0)
	v_lshrrev_b32_e32 v17, 16, v7
	s_waitcnt vmcnt(7)
	v_mul_f16_sdwa v18, v17, v9 dst_sel:DWORD dst_unused:UNUSED_PAD src0_sel:DWORD src1_sel:WORD_1
	v_fma_f16 v18, v7, v9, v18
	v_cvt_f32_f16_e32 v18, v18
	v_lshl_or_b32 v5, v5, 9, v4
	v_cmp_eq_u32_e32 vcc, s17, v15
	v_cndmask_b32_e32 v5, v16, v5, vcc
	v_cvt_f64_f32_e32 v[15:16], v18
	v_lshrrev_b32_e32 v6, 16, v6
	v_and_or_b32 v18, v6, s18, v5
	v_add_co_u32_e32 v2, vcc, s3, v2
	v_mul_f64 v[5:6], v[15:16], s[14:15]
	v_mov_b32_e32 v15, s2
	v_and_b32_e32 v13, 0xffff, v13
	v_addc_co_u32_e32 v3, vcc, v3, v15, vcc
	v_lshl_or_b32 v13, v18, 16, v13
	global_store_dword v[2:3], v13, off
	v_mul_f16_sdwa v7, v7, v9 dst_sel:DWORD dst_unused:UNUSED_PAD src0_sel:DWORD src1_sel:WORD_1
	v_and_or_b32 v5, v6, s10, v5
	v_cmp_ne_u32_e32 vcc, 0, v5
	v_cndmask_b32_e64 v5, 0, 1, vcc
	v_lshrrev_b32_e32 v13, 8, v6
	v_bfe_u32 v15, v6, 20, 11
	v_and_or_b32 v5, v13, s16, v5
	v_sub_u32_e32 v16, 0x3f1, v15
	v_or_b32_e32 v13, 0x1000, v5
	v_med3_i32 v16, v16, 0, 13
	v_lshrrev_b32_e32 v18, v16, v13
	v_lshlrev_b32_e32 v16, v16, v18
	v_cmp_ne_u32_e32 vcc, v16, v13
	v_cndmask_b32_e64 v13, 0, 1, vcc
	v_fma_f16 v7, v9, v17, -v7
	v_or_b32_e32 v13, v18, v13
	v_add_u32_e32 v18, 0xfffffc10, v15
	v_cvt_f32_f16_e32 v7, v7
	v_lshl_or_b32 v15, v18, 12, v5
	v_cmp_gt_i32_e32 vcc, 1, v18
	v_cndmask_b32_e32 v13, v15, v13, vcc
	v_and_b32_e32 v15, 7, v13
	v_cmp_lt_i32_e32 vcc, 5, v15
	v_cmp_eq_u32_e64 s[0:1], 3, v15
	v_cvt_f64_f32_e32 v[15:16], v7
	v_lshrrev_b32_e32 v9, 2, v13
	s_or_b64 vcc, s[0:1], vcc
	v_addc_co_u32_e32 v7, vcc, 0, v9, vcc
	v_mul_f64 v[15:16], v[15:16], s[14:15]
	v_cmp_gt_i32_e32 vcc, 31, v18
	v_cndmask_b32_e32 v7, v4, v7, vcc
	v_cmp_ne_u32_e32 vcc, 0, v5
	v_cndmask_b32_e64 v5, 0, 1, vcc
	v_lshl_or_b32 v5, v5, 9, v4
	v_cmp_eq_u32_e32 vcc, s17, v18
	global_load_dword v17, v34, s[6:7] offset:2880
	global_load_dword v18, v34, s[6:7] offset:3456
	;; [unrolled: 1-line block ×3, first 2 shown]
	v_cndmask_b32_e32 v5, v7, v5, vcc
	v_lshrrev_b32_e32 v6, 16, v6
	v_and_or_b32 v7, v6, s18, v5
	v_and_or_b32 v5, v16, s10, v15
	v_cmp_ne_u32_e32 vcc, 0, v5
	v_cndmask_b32_e64 v5, 0, 1, vcc
	v_lshrrev_b32_e32 v6, 8, v16
	v_bfe_u32 v9, v16, 20, 11
	v_and_or_b32 v5, v6, s16, v5
	v_sub_u32_e32 v13, 0x3f1, v9
	v_or_b32_e32 v6, 0x1000, v5
	v_med3_i32 v13, v13, 0, 13
	v_lshrrev_b32_e32 v15, v13, v6
	v_lshlrev_b32_e32 v13, v13, v15
	v_cmp_ne_u32_e32 vcc, v13, v6
	v_cndmask_b32_e64 v6, 0, 1, vcc
	v_add_u32_e32 v9, 0xfffffc10, v9
	v_or_b32_e32 v6, v15, v6
	v_lshl_or_b32 v13, v9, 12, v5
	v_cmp_gt_i32_e32 vcc, 1, v9
	v_cndmask_b32_e32 v6, v13, v6, vcc
	v_and_b32_e32 v13, 7, v6
	v_cmp_lt_i32_e32 vcc, 5, v13
	v_cmp_eq_u32_e64 s[0:1], 3, v13
	v_lshrrev_b32_e32 v13, 16, v8
	v_lshrrev_b32_e32 v6, 2, v6
	s_or_b64 vcc, s[0:1], vcc
	s_waitcnt vmcnt(4)
	v_mul_f16_sdwa v15, v13, v19 dst_sel:DWORD dst_unused:UNUSED_PAD src0_sel:DWORD src1_sel:WORD_1
	v_addc_co_u32_e32 v6, vcc, 0, v6, vcc
	v_fma_f16 v15, v8, v19, v15
	v_cmp_gt_i32_e32 vcc, 31, v9
	v_cvt_f32_f16_e32 v15, v15
	v_cndmask_b32_e32 v6, v4, v6, vcc
	v_cmp_ne_u32_e32 vcc, 0, v5
	v_cndmask_b32_e64 v5, 0, 1, vcc
	v_lshl_or_b32 v5, v5, 9, v4
	v_cmp_eq_u32_e32 vcc, s17, v9
	v_cndmask_b32_e32 v9, v6, v5, vcc
	v_cvt_f64_f32_e32 v[5:6], v15
	v_lshrrev_b32_e32 v15, 16, v16
	v_and_or_b32 v9, v15, s18, v9
	v_and_b32_e32 v7, 0xffff, v7
	v_mul_f64 v[5:6], v[5:6], s[14:15]
	v_lshl_or_b32 v7, v9, 16, v7
	v_mov_b32_e32 v9, s2
	v_add_co_u32_e32 v2, vcc, s3, v2
	v_addc_co_u32_e32 v3, vcc, v3, v9, vcc
	global_store_dword v[2:3], v7, off
	v_and_or_b32 v5, v6, s10, v5
	v_cmp_ne_u32_e32 vcc, 0, v5
	v_cndmask_b32_e64 v5, 0, 1, vcc
	v_lshrrev_b32_e32 v7, 8, v6
	v_bfe_u32 v9, v6, 20, 11
	v_and_or_b32 v5, v7, s16, v5
	v_sub_u32_e32 v15, 0x3f1, v9
	v_or_b32_e32 v7, 0x1000, v5
	v_med3_i32 v15, v15, 0, 13
	v_lshrrev_b32_e32 v16, v15, v7
	v_mul_f16_sdwa v8, v8, v19 dst_sel:DWORD dst_unused:UNUSED_PAD src0_sel:DWORD src1_sel:WORD_1
	v_lshlrev_b32_e32 v15, v15, v16
	v_fma_f16 v8, v19, v13, -v8
	v_cmp_ne_u32_e32 vcc, v15, v7
	v_cvt_f32_f16_e32 v8, v8
	v_cndmask_b32_e64 v7, 0, 1, vcc
	v_add_u32_e32 v9, 0xfffffc10, v9
	v_or_b32_e32 v7, v16, v7
	v_lshl_or_b32 v15, v9, 12, v5
	v_cmp_gt_i32_e32 vcc, 1, v9
	v_cndmask_b32_e32 v7, v15, v7, vcc
	v_and_b32_e32 v15, 7, v7
	v_lshrrev_b32_e32 v13, 2, v7
	v_cvt_f64_f32_e32 v[7:8], v8
	v_cmp_lt_i32_e32 vcc, 5, v15
	v_cmp_eq_u32_e64 s[0:1], 3, v15
	s_or_b64 vcc, s[0:1], vcc
	v_mul_f64 v[7:8], v[7:8], s[14:15]
	v_addc_co_u32_e32 v13, vcc, 0, v13, vcc
	v_cmp_gt_i32_e32 vcc, 31, v9
	v_cndmask_b32_e32 v13, v4, v13, vcc
	v_cmp_ne_u32_e32 vcc, 0, v5
	v_cndmask_b32_e64 v5, 0, 1, vcc
	v_lshl_or_b32 v5, v5, 9, v4
	v_cmp_eq_u32_e32 vcc, s17, v9
	v_cndmask_b32_e32 v5, v13, v5, vcc
	v_lshrrev_b32_e32 v6, 16, v6
	v_and_or_b32 v9, v6, s18, v5
	v_and_or_b32 v5, v8, s10, v7
	v_cmp_ne_u32_e32 vcc, 0, v5
	v_cndmask_b32_e64 v5, 0, 1, vcc
	v_lshrrev_b32_e32 v6, 8, v8
	v_and_or_b32 v7, v6, s16, v5
	v_bfe_u32 v6, v8, 20, 11
	v_sub_u32_e32 v13, 0x3f1, v6
	v_or_b32_e32 v5, 0x1000, v7
	v_med3_i32 v13, v13, 0, 13
	v_lshrrev_b32_e32 v15, v13, v5
	v_lshlrev_b32_e32 v13, v13, v15
	v_cmp_ne_u32_e32 vcc, v13, v5
	v_cndmask_b32_e64 v5, 0, 1, vcc
	v_add_u32_e32 v13, 0xfffffc10, v6
	v_or_b32_e32 v5, v15, v5
	v_lshl_or_b32 v6, v13, 12, v7
	v_cmp_gt_i32_e32 vcc, 1, v13
	v_cndmask_b32_e32 v5, v6, v5, vcc
	v_and_b32_e32 v6, 7, v5
	v_cmp_lt_i32_e32 vcc, 5, v6
	v_cmp_eq_u32_e64 s[0:1], 3, v6
	v_lshrrev_b32_e32 v5, 2, v5
	s_or_b64 vcc, s[0:1], vcc
	v_addc_co_u32_e32 v15, vcc, 0, v5, vcc
	v_add_u32_e32 v5, 0xa00, v36
	ds_read2_b32 v[5:6], v5 offset0:80 offset1:224
	v_cmp_gt_i32_e32 vcc, 31, v13
	v_cndmask_b32_e32 v15, v4, v15, vcc
	v_cmp_ne_u32_e32 vcc, 0, v7
	v_cndmask_b32_e64 v7, 0, 1, vcc
	s_waitcnt lgkmcnt(0)
	v_lshrrev_b32_e32 v19, 16, v5
	s_waitcnt vmcnt(3)
	v_mul_f16_sdwa v16, v19, v17 dst_sel:DWORD dst_unused:UNUSED_PAD src0_sel:DWORD src1_sel:WORD_1
	v_fma_f16 v16, v5, v17, v16
	v_cvt_f32_f16_e32 v16, v16
	v_lshl_or_b32 v7, v7, 9, v4
	v_cmp_eq_u32_e32 vcc, s17, v13
	v_cndmask_b32_e32 v7, v15, v7, vcc
	v_cvt_f64_f32_e32 v[15:16], v16
	v_lshrrev_b32_e32 v8, 16, v8
	v_and_or_b32 v13, v8, s18, v7
	v_and_b32_e32 v9, 0xffff, v9
	v_mul_f64 v[7:8], v[15:16], s[14:15]
	v_lshl_or_b32 v9, v13, 16, v9
	v_mov_b32_e32 v13, s2
	v_add_co_u32_e32 v2, vcc, s3, v2
	v_addc_co_u32_e32 v3, vcc, v3, v13, vcc
	global_store_dword v[2:3], v9, off
	v_and_or_b32 v7, v8, s10, v7
	v_cmp_ne_u32_e32 vcc, 0, v7
	v_cndmask_b32_e64 v7, 0, 1, vcc
	v_lshrrev_b32_e32 v9, 8, v8
	v_bfe_u32 v13, v8, 20, 11
	v_and_or_b32 v7, v9, s16, v7
	v_sub_u32_e32 v15, 0x3f1, v13
	v_or_b32_e32 v9, 0x1000, v7
	v_med3_i32 v15, v15, 0, 13
	v_lshrrev_b32_e32 v16, v15, v9
	v_lshlrev_b32_e32 v15, v15, v16
	v_mul_f16_sdwa v5, v5, v17 dst_sel:DWORD dst_unused:UNUSED_PAD src0_sel:DWORD src1_sel:WORD_1
	v_cmp_ne_u32_e32 vcc, v15, v9
	v_fma_f16 v5, v17, v19, -v5
	v_cndmask_b32_e64 v9, 0, 1, vcc
	v_add_u32_e32 v13, 0xfffffc10, v13
	v_cvt_f32_f16_e32 v5, v5
	v_or_b32_e32 v9, v16, v9
	v_lshl_or_b32 v15, v13, 12, v7
	v_cmp_gt_i32_e32 vcc, 1, v13
	v_cndmask_b32_e32 v9, v15, v9, vcc
	v_and_b32_e32 v15, 7, v9
	v_cmp_lt_i32_e32 vcc, 5, v15
	v_cmp_eq_u32_e64 s[0:1], 3, v15
	v_cvt_f64_f32_e32 v[15:16], v5
	v_lshrrev_b32_e32 v9, 2, v9
	s_or_b64 vcc, s[0:1], vcc
	v_addc_co_u32_e32 v5, vcc, 0, v9, vcc
	v_mul_f64 v[15:16], v[15:16], s[14:15]
	v_cmp_gt_i32_e32 vcc, 31, v13
	v_cndmask_b32_e32 v5, v4, v5, vcc
	v_cmp_ne_u32_e32 vcc, 0, v7
	v_cndmask_b32_e64 v7, 0, 1, vcc
	v_lshl_or_b32 v7, v7, 9, v4
	v_cmp_eq_u32_e32 vcc, s17, v13
	v_cndmask_b32_e32 v5, v5, v7, vcc
	v_lshrrev_b32_e32 v7, 16, v8
	v_and_or_b32 v5, v7, s18, v5
	v_and_or_b32 v7, v16, s10, v15
	v_cmp_ne_u32_e32 vcc, 0, v7
	v_cndmask_b32_e64 v7, 0, 1, vcc
	v_lshrrev_b32_e32 v8, 8, v16
	v_bfe_u32 v9, v16, 20, 11
	v_and_or_b32 v7, v8, s16, v7
	v_sub_u32_e32 v13, 0x3f1, v9
	v_or_b32_e32 v8, 0x1000, v7
	v_med3_i32 v13, v13, 0, 13
	v_lshrrev_b32_e32 v15, v13, v8
	v_lshlrev_b32_e32 v13, v13, v15
	v_cmp_ne_u32_e32 vcc, v13, v8
	v_cndmask_b32_e64 v8, 0, 1, vcc
	v_add_u32_e32 v9, 0xfffffc10, v9
	v_or_b32_e32 v8, v15, v8
	v_lshl_or_b32 v13, v9, 12, v7
	v_cmp_gt_i32_e32 vcc, 1, v9
	v_cndmask_b32_e32 v8, v13, v8, vcc
	v_and_b32_e32 v13, 7, v8
	v_cmp_lt_i32_e32 vcc, 5, v13
	v_cmp_eq_u32_e64 s[0:1], 3, v13
	v_lshrrev_b32_e32 v13, 16, v6
	v_lshrrev_b32_e32 v8, 2, v8
	s_or_b64 vcc, s[0:1], vcc
	s_waitcnt vmcnt(3)
	v_mul_f16_sdwa v15, v13, v18 dst_sel:DWORD dst_unused:UNUSED_PAD src0_sel:DWORD src1_sel:WORD_1
	v_addc_co_u32_e32 v8, vcc, 0, v8, vcc
	v_fma_f16 v15, v6, v18, v15
	v_cmp_gt_i32_e32 vcc, 31, v9
	v_cvt_f32_f16_e32 v15, v15
	v_cndmask_b32_e32 v8, v4, v8, vcc
	v_cmp_ne_u32_e32 vcc, 0, v7
	v_cndmask_b32_e64 v7, 0, 1, vcc
	v_lshl_or_b32 v7, v7, 9, v4
	v_cmp_eq_u32_e32 vcc, s17, v9
	v_cndmask_b32_e32 v9, v8, v7, vcc
	v_cvt_f64_f32_e32 v[7:8], v15
	v_lshrrev_b32_e32 v15, 16, v16
	v_and_or_b32 v9, v15, s18, v9
	v_and_b32_e32 v5, 0xffff, v5
	v_mul_f64 v[7:8], v[7:8], s[14:15]
	v_lshl_or_b32 v5, v9, 16, v5
	v_mov_b32_e32 v9, s2
	v_add_co_u32_e32 v2, vcc, s3, v2
	v_addc_co_u32_e32 v3, vcc, v3, v9, vcc
	global_store_dword v[2:3], v5, off
	v_and_or_b32 v5, v8, s10, v7
	v_cmp_ne_u32_e32 vcc, 0, v5
	v_cndmask_b32_e64 v5, 0, 1, vcc
	v_lshrrev_b32_e32 v7, 8, v8
	v_bfe_u32 v9, v8, 20, 11
	v_and_or_b32 v7, v7, s16, v5
	v_sub_u32_e32 v15, 0x3f1, v9
	v_or_b32_e32 v5, 0x1000, v7
	v_med3_i32 v15, v15, 0, 13
	v_lshrrev_b32_e32 v16, v15, v5
	v_mul_f16_sdwa v6, v6, v18 dst_sel:DWORD dst_unused:UNUSED_PAD src0_sel:DWORD src1_sel:WORD_1
	v_lshlrev_b32_e32 v15, v15, v16
	v_fma_f16 v6, v18, v13, -v6
	v_cmp_ne_u32_e32 vcc, v15, v5
	v_cvt_f32_f16_e32 v6, v6
	v_cndmask_b32_e64 v5, 0, 1, vcc
	v_add_u32_e32 v9, 0xfffffc10, v9
	v_or_b32_e32 v5, v16, v5
	v_lshl_or_b32 v15, v9, 12, v7
	v_cmp_gt_i32_e32 vcc, 1, v9
	v_cndmask_b32_e32 v5, v15, v5, vcc
	v_and_b32_e32 v15, 7, v5
	v_lshrrev_b32_e32 v13, 2, v5
	v_cvt_f64_f32_e32 v[5:6], v6
	v_cmp_lt_i32_e32 vcc, 5, v15
	v_cmp_eq_u32_e64 s[0:1], 3, v15
	s_or_b64 vcc, s[0:1], vcc
	v_mul_f64 v[5:6], v[5:6], s[14:15]
	v_addc_co_u32_e32 v13, vcc, 0, v13, vcc
	v_cmp_gt_i32_e32 vcc, 31, v9
	v_cndmask_b32_e32 v13, v4, v13, vcc
	v_cmp_ne_u32_e32 vcc, 0, v7
	v_cndmask_b32_e64 v7, 0, 1, vcc
	v_lshl_or_b32 v7, v7, 9, v4
	v_cmp_eq_u32_e32 vcc, s17, v9
	v_and_or_b32 v5, v6, s10, v5
	v_cndmask_b32_e32 v7, v13, v7, vcc
	v_lshrrev_b32_e32 v8, 16, v8
	v_cmp_ne_u32_e32 vcc, 0, v5
	v_and_or_b32 v9, v8, s18, v7
	v_cndmask_b32_e64 v5, 0, 1, vcc
	v_lshrrev_b32_e32 v7, 8, v6
	v_bfe_u32 v8, v6, 20, 11
	v_and_or_b32 v5, v7, s16, v5
	v_sub_u32_e32 v13, 0x3f1, v8
	v_or_b32_e32 v7, 0x1000, v5
	v_med3_i32 v13, v13, 0, 13
	v_lshrrev_b32_e32 v15, v13, v7
	v_lshlrev_b32_e32 v13, v13, v15
	v_cmp_ne_u32_e32 vcc, v13, v7
	v_cndmask_b32_e64 v7, 0, 1, vcc
	v_add_u32_e32 v13, 0xfffffc10, v8
	v_or_b32_e32 v7, v15, v7
	v_lshl_or_b32 v8, v13, 12, v5
	v_cmp_gt_i32_e32 vcc, 1, v13
	v_cndmask_b32_e32 v7, v8, v7, vcc
	v_and_b32_e32 v8, 7, v7
	v_cmp_lt_i32_e32 vcc, 5, v8
	v_cmp_eq_u32_e64 s[0:1], 3, v8
	v_lshrrev_b32_e32 v7, 2, v7
	s_or_b64 vcc, s[0:1], vcc
	v_addc_co_u32_e32 v15, vcc, 0, v7, vcc
	v_add_u32_e32 v7, 0xf00, v36
	ds_read2_b32 v[7:8], v7 offset0:48 offset1:192
	v_cmp_gt_i32_e32 vcc, 31, v13
	v_cndmask_b32_e32 v15, v4, v15, vcc
	v_cmp_ne_u32_e32 vcc, 0, v5
	v_cndmask_b32_e64 v5, 0, 1, vcc
	s_waitcnt lgkmcnt(0)
	v_lshrrev_b32_e32 v17, 16, v7
	s_waitcnt vmcnt(3)
	v_mul_f16_sdwa v16, v17, v20 dst_sel:DWORD dst_unused:UNUSED_PAD src0_sel:DWORD src1_sel:WORD_1
	v_fma_f16 v16, v7, v20, v16
	v_cvt_f32_f16_e32 v16, v16
	v_lshl_or_b32 v5, v5, 9, v4
	v_cmp_eq_u32_e32 vcc, s17, v13
	v_cndmask_b32_e32 v5, v15, v5, vcc
	v_cvt_f64_f32_e32 v[15:16], v16
	v_lshrrev_b32_e32 v6, 16, v6
	v_and_or_b32 v13, v6, s18, v5
	v_and_b32_e32 v9, 0xffff, v9
	v_mul_f64 v[5:6], v[15:16], s[14:15]
	v_lshl_or_b32 v9, v13, 16, v9
	v_mov_b32_e32 v13, s2
	v_add_co_u32_e32 v2, vcc, s3, v2
	v_addc_co_u32_e32 v3, vcc, v3, v13, vcc
	global_store_dword v[2:3], v9, off
	v_and_or_b32 v5, v6, s10, v5
	v_cmp_ne_u32_e32 vcc, 0, v5
	v_cndmask_b32_e64 v5, 0, 1, vcc
	v_lshrrev_b32_e32 v9, 8, v6
	v_bfe_u32 v13, v6, 20, 11
	v_and_or_b32 v5, v9, s16, v5
	v_sub_u32_e32 v15, 0x3f1, v13
	v_or_b32_e32 v9, 0x1000, v5
	v_med3_i32 v15, v15, 0, 13
	v_lshrrev_b32_e32 v16, v15, v9
	v_lshlrev_b32_e32 v15, v15, v16
	v_mul_f16_sdwa v7, v7, v20 dst_sel:DWORD dst_unused:UNUSED_PAD src0_sel:DWORD src1_sel:WORD_1
	v_cmp_ne_u32_e32 vcc, v15, v9
	v_fma_f16 v7, v20, v17, -v7
	v_cndmask_b32_e64 v9, 0, 1, vcc
	v_add_u32_e32 v13, 0xfffffc10, v13
	v_cvt_f32_f16_e32 v7, v7
	v_or_b32_e32 v9, v16, v9
	v_lshl_or_b32 v15, v13, 12, v5
	v_cmp_gt_i32_e32 vcc, 1, v13
	v_cndmask_b32_e32 v9, v15, v9, vcc
	v_and_b32_e32 v15, 7, v9
	v_cmp_lt_i32_e32 vcc, 5, v15
	v_cmp_eq_u32_e64 s[0:1], 3, v15
	v_cvt_f64_f32_e32 v[15:16], v7
	v_lshrrev_b32_e32 v9, 2, v9
	s_or_b64 vcc, s[0:1], vcc
	v_addc_co_u32_e32 v7, vcc, 0, v9, vcc
	v_mul_f64 v[15:16], v[15:16], s[14:15]
	v_cmp_gt_i32_e32 vcc, 31, v13
	v_cndmask_b32_e32 v7, v4, v7, vcc
	v_cmp_ne_u32_e32 vcc, 0, v5
	v_cndmask_b32_e64 v5, 0, 1, vcc
	v_lshl_or_b32 v5, v5, 9, v4
	v_cmp_eq_u32_e32 vcc, s17, v13
	v_cndmask_b32_e32 v5, v7, v5, vcc
	v_lshrrev_b32_e32 v6, 16, v6
	v_and_or_b32 v7, v6, s18, v5
	v_and_or_b32 v5, v16, s10, v15
	v_cmp_ne_u32_e32 vcc, 0, v5
	v_cndmask_b32_e64 v5, 0, 1, vcc
	v_lshrrev_b32_e32 v6, 8, v16
	v_bfe_u32 v9, v16, 20, 11
	v_and_or_b32 v5, v6, s16, v5
	v_sub_u32_e32 v13, 0x3f1, v9
	v_or_b32_e32 v6, 0x1000, v5
	v_med3_i32 v13, v13, 0, 13
	v_lshrrev_b32_e32 v15, v13, v6
	v_lshlrev_b32_e32 v13, v13, v15
	v_cmp_ne_u32_e32 vcc, v13, v6
	v_cndmask_b32_e64 v6, 0, 1, vcc
	v_add_u32_e32 v9, 0xfffffc10, v9
	v_or_b32_e32 v6, v15, v6
	v_lshl_or_b32 v13, v9, 12, v5
	v_cmp_gt_i32_e32 vcc, 1, v9
	v_cndmask_b32_e32 v6, v13, v6, vcc
	v_and_b32_e32 v13, 7, v6
	v_cmp_lt_i32_e32 vcc, 5, v13
	v_cmp_eq_u32_e64 s[0:1], 3, v13
	v_lshrrev_b32_e32 v13, 16, v8
	v_lshrrev_b32_e32 v6, 2, v6
	s_or_b64 vcc, s[0:1], vcc
	v_mul_f16_sdwa v15, v13, v11 dst_sel:DWORD dst_unused:UNUSED_PAD src0_sel:DWORD src1_sel:WORD_1
	v_addc_co_u32_e32 v6, vcc, 0, v6, vcc
	v_fma_f16 v15, v8, v11, v15
	v_cmp_gt_i32_e32 vcc, 31, v9
	v_cvt_f32_f16_e32 v15, v15
	v_cndmask_b32_e32 v6, v4, v6, vcc
	v_cmp_ne_u32_e32 vcc, 0, v5
	v_cndmask_b32_e64 v5, 0, 1, vcc
	v_lshl_or_b32 v5, v5, 9, v4
	v_cmp_eq_u32_e32 vcc, s17, v9
	v_cndmask_b32_e32 v9, v6, v5, vcc
	v_cvt_f64_f32_e32 v[5:6], v15
	v_lshrrev_b32_e32 v15, 16, v16
	v_and_or_b32 v9, v15, s18, v9
	v_and_b32_e32 v7, 0xffff, v7
	v_mul_f64 v[5:6], v[5:6], s[14:15]
	v_lshl_or_b32 v7, v9, 16, v7
	v_mov_b32_e32 v9, s2
	v_add_co_u32_e32 v2, vcc, s3, v2
	v_addc_co_u32_e32 v3, vcc, v3, v9, vcc
	global_store_dword v[2:3], v7, off
	v_and_or_b32 v5, v6, s10, v5
	v_cmp_ne_u32_e32 vcc, 0, v5
	v_cndmask_b32_e64 v5, 0, 1, vcc
	v_lshrrev_b32_e32 v7, 8, v6
	v_bfe_u32 v9, v6, 20, 11
	v_and_or_b32 v5, v7, s16, v5
	v_sub_u32_e32 v15, 0x3f1, v9
	v_or_b32_e32 v7, 0x1000, v5
	v_med3_i32 v15, v15, 0, 13
	v_lshrrev_b32_e32 v16, v15, v7
	v_mul_f16_sdwa v8, v8, v11 dst_sel:DWORD dst_unused:UNUSED_PAD src0_sel:DWORD src1_sel:WORD_1
	v_lshlrev_b32_e32 v15, v15, v16
	v_fma_f16 v8, v11, v13, -v8
	v_cmp_ne_u32_e32 vcc, v15, v7
	v_cvt_f32_f16_e32 v8, v8
	v_cndmask_b32_e64 v7, 0, 1, vcc
	v_add_u32_e32 v9, 0xfffffc10, v9
	v_or_b32_e32 v7, v16, v7
	v_lshl_or_b32 v15, v9, 12, v5
	v_cmp_gt_i32_e32 vcc, 1, v9
	v_cndmask_b32_e32 v7, v15, v7, vcc
	v_and_b32_e32 v15, 7, v7
	v_lshrrev_b32_e32 v11, 2, v7
	v_cvt_f64_f32_e32 v[7:8], v8
	v_cmp_lt_i32_e32 vcc, 5, v15
	v_cmp_eq_u32_e64 s[0:1], 3, v15
	s_or_b64 vcc, s[0:1], vcc
	v_mul_f64 v[7:8], v[7:8], s[14:15]
	v_addc_co_u32_e32 v11, vcc, 0, v11, vcc
	v_cmp_gt_i32_e32 vcc, 31, v9
	v_cndmask_b32_e32 v11, v4, v11, vcc
	v_cmp_ne_u32_e32 vcc, 0, v5
	v_cndmask_b32_e64 v5, 0, 1, vcc
	v_lshl_or_b32 v5, v5, 9, v4
	v_cmp_eq_u32_e32 vcc, s17, v9
	v_cndmask_b32_e32 v5, v11, v5, vcc
	v_lshrrev_b32_e32 v6, 16, v6
	v_and_or_b32 v9, v6, s18, v5
	v_and_or_b32 v5, v8, s10, v7
	v_cmp_ne_u32_e32 vcc, 0, v5
	v_cndmask_b32_e64 v5, 0, 1, vcc
	v_lshrrev_b32_e32 v6, 8, v8
	v_and_or_b32 v7, v6, s16, v5
	v_bfe_u32 v6, v8, 20, 11
	v_sub_u32_e32 v11, 0x3f1, v6
	v_or_b32_e32 v5, 0x1000, v7
	v_med3_i32 v11, v11, 0, 13
	v_lshrrev_b32_e32 v13, v11, v5
	v_lshlrev_b32_e32 v11, v11, v13
	v_cmp_ne_u32_e32 vcc, v11, v5
	v_cndmask_b32_e64 v5, 0, 1, vcc
	v_add_u32_e32 v11, 0xfffffc10, v6
	v_or_b32_e32 v5, v13, v5
	v_lshl_or_b32 v6, v11, 12, v7
	v_cmp_gt_i32_e32 vcc, 1, v11
	v_cndmask_b32_e32 v5, v6, v5, vcc
	v_and_b32_e32 v6, 7, v5
	v_cmp_lt_i32_e32 vcc, 5, v6
	v_cmp_eq_u32_e64 s[0:1], 3, v6
	v_lshrrev_b32_e32 v5, 2, v5
	s_or_b64 vcc, s[0:1], vcc
	v_addc_co_u32_e32 v13, vcc, 0, v5, vcc
	v_add_u32_e32 v5, 0x1400, v36
	ds_read2_b32 v[5:6], v5 offset0:16 offset1:160
	v_cmp_gt_i32_e32 vcc, 31, v11
	v_cndmask_b32_e32 v13, v4, v13, vcc
	v_cmp_ne_u32_e32 vcc, 0, v7
	v_cndmask_b32_e64 v7, 0, 1, vcc
	s_waitcnt lgkmcnt(0)
	v_lshrrev_b32_e32 v17, 16, v5
	v_mul_f16_sdwa v15, v17, v12 dst_sel:DWORD dst_unused:UNUSED_PAD src0_sel:DWORD src1_sel:WORD_1
	v_fma_f16 v15, v5, v12, v15
	v_cvt_f32_f16_e32 v15, v15
	v_lshl_or_b32 v7, v7, 9, v4
	v_cmp_eq_u32_e32 vcc, s17, v11
	v_cndmask_b32_e32 v7, v13, v7, vcc
	v_cvt_f64_f32_e32 v[15:16], v15
	v_lshrrev_b32_e32 v8, 16, v8
	v_and_or_b32 v11, v8, s18, v7
	v_and_b32_e32 v9, 0xffff, v9
	v_mul_f64 v[7:8], v[15:16], s[14:15]
	v_lshl_or_b32 v9, v11, 16, v9
	v_mov_b32_e32 v11, s2
	v_add_co_u32_e32 v2, vcc, s3, v2
	v_addc_co_u32_e32 v3, vcc, v3, v11, vcc
	global_store_dword v[2:3], v9, off
	v_and_or_b32 v7, v8, s10, v7
	v_cmp_ne_u32_e32 vcc, 0, v7
	v_cndmask_b32_e64 v7, 0, 1, vcc
	v_lshrrev_b32_e32 v9, 8, v8
	v_bfe_u32 v11, v8, 20, 11
	v_and_or_b32 v7, v9, s16, v7
	v_sub_u32_e32 v13, 0x3f1, v11
	v_or_b32_e32 v9, 0x1000, v7
	v_med3_i32 v13, v13, 0, 13
	v_lshrrev_b32_e32 v15, v13, v9
	v_lshlrev_b32_e32 v13, v13, v15
	v_mul_f16_sdwa v5, v5, v12 dst_sel:DWORD dst_unused:UNUSED_PAD src0_sel:DWORD src1_sel:WORD_1
	v_cmp_ne_u32_e32 vcc, v13, v9
	v_fma_f16 v5, v12, v17, -v5
	v_cndmask_b32_e64 v9, 0, 1, vcc
	v_add_u32_e32 v13, 0xfffffc10, v11
	v_cvt_f32_f16_e32 v5, v5
	v_or_b32_e32 v9, v15, v9
	v_lshl_or_b32 v11, v13, 12, v7
	v_cmp_gt_i32_e32 vcc, 1, v13
	v_cndmask_b32_e32 v9, v11, v9, vcc
	v_and_b32_e32 v11, 7, v9
	v_cmp_lt_i32_e32 vcc, 5, v11
	v_cmp_eq_u32_e64 s[0:1], 3, v11
	v_cvt_f64_f32_e32 v[11:12], v5
	v_lshrrev_b32_e32 v9, 2, v9
	s_or_b64 vcc, s[0:1], vcc
	v_addc_co_u32_e32 v5, vcc, 0, v9, vcc
	v_mul_f64 v[11:12], v[11:12], s[14:15]
	v_cmp_gt_i32_e32 vcc, 31, v13
	v_cndmask_b32_e32 v5, v4, v5, vcc
	v_cmp_ne_u32_e32 vcc, 0, v7
	v_cndmask_b32_e64 v7, 0, 1, vcc
	v_lshl_or_b32 v7, v7, 9, v4
	v_cmp_eq_u32_e32 vcc, s17, v13
	v_cndmask_b32_e32 v5, v5, v7, vcc
	v_lshrrev_b32_e32 v7, 16, v8
	v_and_or_b32 v5, v7, s18, v5
	v_and_or_b32 v7, v12, s10, v11
	v_cmp_ne_u32_e32 vcc, 0, v7
	v_cndmask_b32_e64 v7, 0, 1, vcc
	v_lshrrev_b32_e32 v8, 8, v12
	v_bfe_u32 v9, v12, 20, 11
	v_and_or_b32 v7, v8, s16, v7
	v_sub_u32_e32 v11, 0x3f1, v9
	v_or_b32_e32 v8, 0x1000, v7
	v_med3_i32 v11, v11, 0, 13
	v_lshrrev_b32_e32 v13, v11, v8
	v_lshlrev_b32_e32 v11, v11, v13
	v_cmp_ne_u32_e32 vcc, v11, v8
	v_cndmask_b32_e64 v8, 0, 1, vcc
	v_add_u32_e32 v9, 0xfffffc10, v9
	v_or_b32_e32 v8, v13, v8
	v_lshl_or_b32 v11, v9, 12, v7
	v_cmp_gt_i32_e32 vcc, 1, v9
	v_cndmask_b32_e32 v8, v11, v8, vcc
	v_and_b32_e32 v11, 7, v8
	v_cmp_lt_i32_e32 vcc, 5, v11
	v_cmp_eq_u32_e64 s[0:1], 3, v11
	v_lshrrev_b32_e32 v11, 16, v6
	v_lshrrev_b32_e32 v8, 2, v8
	s_or_b64 vcc, s[0:1], vcc
	v_mul_f16_sdwa v13, v11, v14 dst_sel:DWORD dst_unused:UNUSED_PAD src0_sel:DWORD src1_sel:WORD_1
	v_addc_co_u32_e32 v8, vcc, 0, v8, vcc
	v_fma_f16 v13, v6, v14, v13
	v_cmp_gt_i32_e32 vcc, 31, v9
	v_cvt_f32_f16_e32 v13, v13
	v_cndmask_b32_e32 v8, v4, v8, vcc
	v_cmp_ne_u32_e32 vcc, 0, v7
	v_cndmask_b32_e64 v7, 0, 1, vcc
	v_lshl_or_b32 v7, v7, 9, v4
	v_cmp_eq_u32_e32 vcc, s17, v9
	v_cndmask_b32_e32 v9, v8, v7, vcc
	v_cvt_f64_f32_e32 v[7:8], v13
	v_lshrrev_b32_e32 v12, 16, v12
	v_and_or_b32 v9, v12, s18, v9
	v_and_b32_e32 v5, 0xffff, v5
	v_mul_f64 v[7:8], v[7:8], s[14:15]
	v_lshl_or_b32 v5, v9, 16, v5
	v_mov_b32_e32 v9, s2
	v_add_co_u32_e32 v2, vcc, s3, v2
	v_addc_co_u32_e32 v3, vcc, v3, v9, vcc
	global_store_dword v[2:3], v5, off
	v_and_or_b32 v5, v8, s10, v7
	v_cmp_ne_u32_e32 vcc, 0, v5
	v_cndmask_b32_e64 v5, 0, 1, vcc
	v_lshrrev_b32_e32 v7, 8, v8
	v_bfe_u32 v9, v8, 20, 11
	v_and_or_b32 v7, v7, s16, v5
	v_sub_u32_e32 v12, 0x3f1, v9
	v_or_b32_e32 v5, 0x1000, v7
	v_med3_i32 v12, v12, 0, 13
	v_lshrrev_b32_e32 v13, v12, v5
	v_mul_f16_sdwa v6, v6, v14 dst_sel:DWORD dst_unused:UNUSED_PAD src0_sel:DWORD src1_sel:WORD_1
	v_lshlrev_b32_e32 v12, v12, v13
	v_fma_f16 v6, v14, v11, -v6
	v_cmp_ne_u32_e32 vcc, v12, v5
	v_cvt_f32_f16_e32 v6, v6
	v_cndmask_b32_e64 v5, 0, 1, vcc
	v_add_u32_e32 v9, 0xfffffc10, v9
	v_or_b32_e32 v5, v13, v5
	v_lshl_or_b32 v12, v9, 12, v7
	v_cmp_gt_i32_e32 vcc, 1, v9
	v_cndmask_b32_e32 v5, v12, v5, vcc
	v_and_b32_e32 v12, 7, v5
	v_lshrrev_b32_e32 v11, 2, v5
	v_cvt_f64_f32_e32 v[5:6], v6
	v_cmp_lt_i32_e32 vcc, 5, v12
	v_cmp_eq_u32_e64 s[0:1], 3, v12
	s_or_b64 vcc, s[0:1], vcc
	v_mul_f64 v[5:6], v[5:6], s[14:15]
	v_addc_co_u32_e32 v11, vcc, 0, v11, vcc
	v_cmp_gt_i32_e32 vcc, 31, v9
	v_cndmask_b32_e32 v11, v4, v11, vcc
	v_cmp_ne_u32_e32 vcc, 0, v7
	v_cndmask_b32_e64 v7, 0, 1, vcc
	v_lshl_or_b32 v7, v7, 9, v4
	v_cmp_eq_u32_e32 vcc, s17, v9
	v_and_or_b32 v5, v6, s10, v5
	v_cndmask_b32_e32 v7, v11, v7, vcc
	v_lshrrev_b32_e32 v8, 16, v8
	v_cmp_ne_u32_e32 vcc, 0, v5
	v_and_or_b32 v9, v8, s18, v7
	v_cndmask_b32_e64 v5, 0, 1, vcc
	v_lshrrev_b32_e32 v7, 8, v6
	v_bfe_u32 v8, v6, 20, 11
	v_and_or_b32 v5, v7, s16, v5
	v_sub_u32_e32 v11, 0x3f1, v8
	v_or_b32_e32 v7, 0x1000, v5
	v_med3_i32 v11, v11, 0, 13
	v_lshrrev_b32_e32 v12, v11, v7
	v_lshlrev_b32_e32 v11, v11, v12
	v_cmp_ne_u32_e32 vcc, v11, v7
	v_cndmask_b32_e64 v7, 0, 1, vcc
	v_add_u32_e32 v11, 0xfffffc10, v8
	v_or_b32_e32 v7, v12, v7
	v_lshl_or_b32 v8, v11, 12, v5
	v_cmp_gt_i32_e32 vcc, 1, v11
	v_cndmask_b32_e32 v7, v8, v7, vcc
	v_and_b32_e32 v8, 7, v7
	v_cmp_lt_i32_e32 vcc, 5, v8
	v_cmp_eq_u32_e64 s[0:1], 3, v8
	v_lshrrev_b32_e32 v7, 2, v7
	s_or_b64 vcc, s[0:1], vcc
	v_addc_co_u32_e32 v12, vcc, 0, v7, vcc
	v_add_u32_e32 v7, 0x1800, v36
	ds_read2_b32 v[7:8], v7 offset0:48 offset1:192
	v_cmp_gt_i32_e32 vcc, 31, v11
	v_cndmask_b32_e32 v12, v4, v12, vcc
	v_cmp_ne_u32_e32 vcc, 0, v5
	v_cndmask_b32_e64 v5, 0, 1, vcc
	s_waitcnt lgkmcnt(0)
	v_lshrrev_b32_e32 v13, 16, v7
	v_mul_f16_sdwa v14, v13, v10 dst_sel:DWORD dst_unused:UNUSED_PAD src0_sel:DWORD src1_sel:WORD_1
	v_fma_f16 v14, v7, v10, v14
	v_cvt_f32_f16_e32 v14, v14
	v_lshl_or_b32 v5, v5, 9, v4
	v_cmp_eq_u32_e32 vcc, s17, v11
	v_cndmask_b32_e32 v5, v12, v5, vcc
	v_cvt_f64_f32_e32 v[11:12], v14
	v_lshrrev_b32_e32 v6, 16, v6
	v_and_or_b32 v14, v6, s18, v5
	v_add_co_u32_e32 v2, vcc, s3, v2
	v_mul_f64 v[5:6], v[11:12], s[14:15]
	v_mov_b32_e32 v11, s2
	v_and_b32_e32 v9, 0xffff, v9
	v_addc_co_u32_e32 v3, vcc, v3, v11, vcc
	v_lshl_or_b32 v9, v14, 16, v9
	global_store_dword v[2:3], v9, off
	v_mul_f16_sdwa v7, v7, v10 dst_sel:DWORD dst_unused:UNUSED_PAD src0_sel:DWORD src1_sel:WORD_1
	v_and_or_b32 v5, v6, s10, v5
	v_cmp_ne_u32_e32 vcc, 0, v5
	v_cndmask_b32_e64 v5, 0, 1, vcc
	v_lshrrev_b32_e32 v9, 8, v6
	v_bfe_u32 v11, v6, 20, 11
	v_and_or_b32 v5, v9, s16, v5
	v_sub_u32_e32 v12, 0x3f1, v11
	v_or_b32_e32 v9, 0x1000, v5
	v_med3_i32 v12, v12, 0, 13
	v_lshrrev_b32_e32 v14, v12, v9
	v_lshlrev_b32_e32 v12, v12, v14
	v_cmp_ne_u32_e32 vcc, v12, v9
	v_fma_f16 v7, v10, v13, -v7
	v_cndmask_b32_e64 v9, 0, 1, vcc
	v_add_u32_e32 v11, 0xfffffc10, v11
	v_cvt_f32_f16_e32 v7, v7
	v_or_b32_e32 v9, v14, v9
	v_lshl_or_b32 v12, v11, 12, v5
	v_cmp_gt_i32_e32 vcc, 1, v11
	v_cndmask_b32_e32 v9, v12, v9, vcc
	v_and_b32_e32 v12, 7, v9
	v_cmp_lt_i32_e32 vcc, 5, v12
	v_cmp_eq_u32_e64 s[0:1], 3, v12
	v_lshrrev_b32_e32 v12, 2, v9
	v_cvt_f64_f32_e32 v[9:10], v7
	s_or_b64 vcc, s[0:1], vcc
	v_addc_co_u32_e32 v7, vcc, 0, v12, vcc
	v_mul_f64 v[9:10], v[9:10], s[14:15]
	v_cmp_gt_i32_e32 vcc, 31, v11
	v_cndmask_b32_e32 v7, v4, v7, vcc
	v_cmp_ne_u32_e32 vcc, 0, v5
	v_cndmask_b32_e64 v5, 0, 1, vcc
	v_lshl_or_b32 v5, v5, 9, v4
	v_cmp_eq_u32_e32 vcc, s17, v11
	v_cndmask_b32_e32 v5, v7, v5, vcc
	v_lshrrev_b32_e32 v6, 16, v6
	v_and_or_b32 v5, v6, s18, v5
	v_and_or_b32 v6, v10, s10, v9
	v_cmp_ne_u32_e32 vcc, 0, v6
	v_cndmask_b32_e64 v6, 0, 1, vcc
	v_lshrrev_b32_e32 v7, 8, v10
	v_bfe_u32 v9, v10, 20, 11
	v_and_or_b32 v6, v7, s16, v6
	v_sub_u32_e32 v11, 0x3f1, v9
	v_or_b32_e32 v7, 0x1000, v6
	v_med3_i32 v11, v11, 0, 13
	v_lshrrev_b32_e32 v12, v11, v7
	v_lshlrev_b32_e32 v11, v11, v12
	v_cmp_ne_u32_e32 vcc, v11, v7
	v_cndmask_b32_e64 v7, 0, 1, vcc
	v_add_u32_e32 v9, 0xfffffc10, v9
	v_or_b32_e32 v7, v12, v7
	v_lshl_or_b32 v11, v9, 12, v6
	v_cmp_gt_i32_e32 vcc, 1, v9
	v_cndmask_b32_e32 v7, v11, v7, vcc
	v_and_b32_e32 v11, 7, v7
	v_cmp_lt_i32_e32 vcc, 5, v11
	v_cmp_eq_u32_e64 s[0:1], 3, v11
	v_lshrrev_b32_e32 v7, 2, v7
	s_or_b64 vcc, s[0:1], vcc
	v_addc_co_u32_e32 v7, vcc, 0, v7, vcc
	v_cmp_gt_i32_e32 vcc, 31, v9
	v_cndmask_b32_e32 v7, v4, v7, vcc
	v_cmp_ne_u32_e32 vcc, 0, v6
	v_cndmask_b32_e64 v6, 0, 1, vcc
	v_lshl_or_b32 v6, v6, 9, v4
	v_cmp_eq_u32_e32 vcc, s17, v9
	v_cndmask_b32_e32 v6, v7, v6, vcc
	v_lshrrev_b32_e32 v7, 16, v10
	v_and_or_b32 v6, v7, s18, v6
	v_and_b32_e32 v5, 0xffff, v5
	v_lshl_or_b32 v5, v6, 16, v5
	v_mov_b32_e32 v6, s2
	v_add_co_u32_e32 v2, vcc, s3, v2
	v_addc_co_u32_e32 v3, vcc, v3, v6, vcc
	global_store_dword v[2:3], v5, off
	global_load_dword v5, v[0:1], off offset:2816
	v_lshrrev_b32_e32 v6, 16, v8
	s_waitcnt vmcnt(0)
	v_mul_f16_sdwa v0, v6, v5 dst_sel:DWORD dst_unused:UNUSED_PAD src0_sel:DWORD src1_sel:WORD_1
	v_fma_f16 v0, v8, v5, v0
	v_cvt_f32_f16_e32 v0, v0
	v_mul_f16_sdwa v8, v8, v5 dst_sel:DWORD dst_unused:UNUSED_PAD src0_sel:DWORD src1_sel:WORD_1
	v_fma_f16 v5, v5, v6, -v8
	v_cvt_f32_f16_e32 v5, v5
	v_cvt_f64_f32_e32 v[0:1], v0
	v_cvt_f64_f32_e32 v[5:6], v5
	v_mul_f64 v[0:1], v[0:1], s[14:15]
	v_mul_f64 v[5:6], v[5:6], s[14:15]
	v_and_or_b32 v0, v1, s10, v0
	v_cmp_ne_u32_e32 vcc, 0, v0
	v_cndmask_b32_e64 v0, 0, 1, vcc
	v_lshrrev_b32_e32 v7, 8, v1
	v_bfe_u32 v9, v1, 20, 11
	v_and_or_b32 v0, v7, s16, v0
	v_sub_u32_e32 v10, 0x3f1, v9
	v_or_b32_e32 v7, 0x1000, v0
	v_med3_i32 v10, v10, 0, 13
	v_lshrrev_b32_e32 v11, v10, v7
	v_lshlrev_b32_e32 v10, v10, v11
	v_cmp_ne_u32_e32 vcc, v10, v7
	v_cndmask_b32_e64 v7, 0, 1, vcc
	v_add_u32_e32 v9, 0xfffffc10, v9
	v_or_b32_e32 v7, v11, v7
	v_lshl_or_b32 v10, v9, 12, v0
	v_cmp_gt_i32_e32 vcc, 1, v9
	v_cndmask_b32_e32 v7, v10, v7, vcc
	v_and_b32_e32 v10, 7, v7
	v_cmp_lt_i32_e32 vcc, 5, v10
	v_cmp_eq_u32_e64 s[0:1], 3, v10
	v_lshrrev_b32_e32 v7, 2, v7
	s_or_b64 vcc, s[0:1], vcc
	v_addc_co_u32_e32 v7, vcc, 0, v7, vcc
	v_cmp_gt_i32_e32 vcc, 31, v9
	v_cndmask_b32_e32 v7, v4, v7, vcc
	v_cmp_ne_u32_e32 vcc, 0, v0
	v_cndmask_b32_e64 v0, 0, 1, vcc
	v_lshl_or_b32 v0, v0, 9, v4
	v_cmp_eq_u32_e32 vcc, s17, v9
	v_cndmask_b32_e32 v0, v7, v0, vcc
	v_lshrrev_b32_e32 v1, 16, v1
	v_and_or_b32 v0, v1, s18, v0
	v_and_or_b32 v1, v6, s10, v5
	v_cmp_ne_u32_e32 vcc, 0, v1
	v_cndmask_b32_e64 v1, 0, 1, vcc
	v_lshrrev_b32_e32 v5, 8, v6
	v_bfe_u32 v7, v6, 20, 11
	v_and_or_b32 v1, v5, s16, v1
	v_sub_u32_e32 v8, 0x3f1, v7
	v_or_b32_e32 v5, 0x1000, v1
	v_med3_i32 v8, v8, 0, 13
	v_lshrrev_b32_e32 v9, v8, v5
	v_lshlrev_b32_e32 v8, v8, v9
	v_cmp_ne_u32_e32 vcc, v8, v5
	v_cndmask_b32_e64 v5, 0, 1, vcc
	v_add_u32_e32 v7, 0xfffffc10, v7
	v_or_b32_e32 v5, v9, v5
	v_lshl_or_b32 v8, v7, 12, v1
	v_cmp_gt_i32_e32 vcc, 1, v7
	v_cndmask_b32_e32 v5, v8, v5, vcc
	v_and_b32_e32 v8, 7, v5
	v_cmp_lt_i32_e32 vcc, 5, v8
	v_cmp_eq_u32_e64 s[0:1], 3, v8
	v_lshrrev_b32_e32 v5, 2, v5
	s_or_b64 vcc, s[0:1], vcc
	v_addc_co_u32_e32 v5, vcc, 0, v5, vcc
	v_cmp_gt_i32_e32 vcc, 31, v7
	v_cndmask_b32_e32 v5, v4, v5, vcc
	v_cmp_ne_u32_e32 vcc, 0, v1
	v_cndmask_b32_e64 v1, 0, 1, vcc
	v_lshl_or_b32 v1, v1, 9, v4
	v_cmp_eq_u32_e32 vcc, s17, v7
	v_cndmask_b32_e32 v1, v5, v1, vcc
	v_lshrrev_b32_e32 v4, 16, v6
	v_and_or_b32 v1, v4, s18, v1
	v_and_b32_e32 v0, 0xffff, v0
	v_lshl_or_b32 v4, v1, 16, v0
	v_mov_b32_e32 v1, s2
	v_add_co_u32_e32 v0, vcc, s3, v2
	v_addc_co_u32_e32 v1, vcc, v3, v1, vcc
	global_store_dword v[0:1], v4, off
.LBB0_15:
	s_endpgm
	.section	.rodata,"a",@progbits
	.p2align	6, 0x0
	.amdhsa_kernel bluestein_single_back_len1872_dim1_half_op_CI_CI
		.amdhsa_group_segment_fixed_size 7488
		.amdhsa_private_segment_fixed_size 0
		.amdhsa_kernarg_size 104
		.amdhsa_user_sgpr_count 6
		.amdhsa_user_sgpr_private_segment_buffer 1
		.amdhsa_user_sgpr_dispatch_ptr 0
		.amdhsa_user_sgpr_queue_ptr 0
		.amdhsa_user_sgpr_kernarg_segment_ptr 1
		.amdhsa_user_sgpr_dispatch_id 0
		.amdhsa_user_sgpr_flat_scratch_init 0
		.amdhsa_user_sgpr_private_segment_size 0
		.amdhsa_uses_dynamic_stack 0
		.amdhsa_system_sgpr_private_segment_wavefront_offset 0
		.amdhsa_system_sgpr_workgroup_id_x 1
		.amdhsa_system_sgpr_workgroup_id_y 0
		.amdhsa_system_sgpr_workgroup_id_z 0
		.amdhsa_system_sgpr_workgroup_info 0
		.amdhsa_system_vgpr_workitem_id 0
		.amdhsa_next_free_vgpr 162
		.amdhsa_next_free_sgpr 30
		.amdhsa_reserve_vcc 1
		.amdhsa_reserve_flat_scratch 0
		.amdhsa_float_round_mode_32 0
		.amdhsa_float_round_mode_16_64 0
		.amdhsa_float_denorm_mode_32 3
		.amdhsa_float_denorm_mode_16_64 3
		.amdhsa_dx10_clamp 1
		.amdhsa_ieee_mode 1
		.amdhsa_fp16_overflow 0
		.amdhsa_exception_fp_ieee_invalid_op 0
		.amdhsa_exception_fp_denorm_src 0
		.amdhsa_exception_fp_ieee_div_zero 0
		.amdhsa_exception_fp_ieee_overflow 0
		.amdhsa_exception_fp_ieee_underflow 0
		.amdhsa_exception_fp_ieee_inexact 0
		.amdhsa_exception_int_div_zero 0
	.end_amdhsa_kernel
	.text
.Lfunc_end0:
	.size	bluestein_single_back_len1872_dim1_half_op_CI_CI, .Lfunc_end0-bluestein_single_back_len1872_dim1_half_op_CI_CI
                                        ; -- End function
	.section	.AMDGPU.csdata,"",@progbits
; Kernel info:
; codeLenInByte = 22600
; NumSgprs: 34
; NumVgprs: 162
; ScratchSize: 0
; MemoryBound: 0
; FloatMode: 240
; IeeeMode: 1
; LDSByteSize: 7488 bytes/workgroup (compile time only)
; SGPRBlocks: 4
; VGPRBlocks: 40
; NumSGPRsForWavesPerEU: 34
; NumVGPRsForWavesPerEU: 162
; Occupancy: 1
; WaveLimiterHint : 1
; COMPUTE_PGM_RSRC2:SCRATCH_EN: 0
; COMPUTE_PGM_RSRC2:USER_SGPR: 6
; COMPUTE_PGM_RSRC2:TRAP_HANDLER: 0
; COMPUTE_PGM_RSRC2:TGID_X_EN: 1
; COMPUTE_PGM_RSRC2:TGID_Y_EN: 0
; COMPUTE_PGM_RSRC2:TGID_Z_EN: 0
; COMPUTE_PGM_RSRC2:TIDIG_COMP_CNT: 0
	.type	__hip_cuid_a79e2350081afd75,@object ; @__hip_cuid_a79e2350081afd75
	.section	.bss,"aw",@nobits
	.globl	__hip_cuid_a79e2350081afd75
__hip_cuid_a79e2350081afd75:
	.byte	0                               ; 0x0
	.size	__hip_cuid_a79e2350081afd75, 1

	.ident	"AMD clang version 19.0.0git (https://github.com/RadeonOpenCompute/llvm-project roc-6.4.0 25133 c7fe45cf4b819c5991fe208aaa96edf142730f1d)"
	.section	".note.GNU-stack","",@progbits
	.addrsig
	.addrsig_sym __hip_cuid_a79e2350081afd75
	.amdgpu_metadata
---
amdhsa.kernels:
  - .args:
      - .actual_access:  read_only
        .address_space:  global
        .offset:         0
        .size:           8
        .value_kind:     global_buffer
      - .actual_access:  read_only
        .address_space:  global
        .offset:         8
        .size:           8
        .value_kind:     global_buffer
      - .actual_access:  read_only
        .address_space:  global
        .offset:         16
        .size:           8
        .value_kind:     global_buffer
      - .actual_access:  read_only
        .address_space:  global
        .offset:         24
        .size:           8
        .value_kind:     global_buffer
      - .actual_access:  read_only
        .address_space:  global
        .offset:         32
        .size:           8
        .value_kind:     global_buffer
      - .offset:         40
        .size:           8
        .value_kind:     by_value
      - .address_space:  global
        .offset:         48
        .size:           8
        .value_kind:     global_buffer
      - .address_space:  global
        .offset:         56
        .size:           8
        .value_kind:     global_buffer
      - .address_space:  global
        .offset:         64
        .size:           8
        .value_kind:     global_buffer
      - .address_space:  global
        .offset:         72
        .size:           8
        .value_kind:     global_buffer
      - .offset:         80
        .size:           4
        .value_kind:     by_value
      - .address_space:  global
        .offset:         88
        .size:           8
        .value_kind:     global_buffer
      - .address_space:  global
        .offset:         96
        .size:           8
        .value_kind:     global_buffer
    .group_segment_fixed_size: 7488
    .kernarg_segment_align: 8
    .kernarg_segment_size: 104
    .language:       OpenCL C
    .language_version:
      - 2
      - 0
    .max_flat_workgroup_size: 156
    .name:           bluestein_single_back_len1872_dim1_half_op_CI_CI
    .private_segment_fixed_size: 0
    .sgpr_count:     34
    .sgpr_spill_count: 0
    .symbol:         bluestein_single_back_len1872_dim1_half_op_CI_CI.kd
    .uniform_work_group_size: 1
    .uses_dynamic_stack: false
    .vgpr_count:     162
    .vgpr_spill_count: 0
    .wavefront_size: 64
amdhsa.target:   amdgcn-amd-amdhsa--gfx906
amdhsa.version:
  - 1
  - 2
...

	.end_amdgpu_metadata
